;; amdgpu-corpus repo=ROCm/rocFFT kind=compiled arch=gfx906 opt=O3
	.text
	.amdgcn_target "amdgcn-amd-amdhsa--gfx906"
	.amdhsa_code_object_version 6
	.protected	bluestein_single_back_len528_dim1_sp_op_CI_CI ; -- Begin function bluestein_single_back_len528_dim1_sp_op_CI_CI
	.globl	bluestein_single_back_len528_dim1_sp_op_CI_CI
	.p2align	8
	.type	bluestein_single_back_len528_dim1_sp_op_CI_CI,@function
bluestein_single_back_len528_dim1_sp_op_CI_CI: ; @bluestein_single_back_len528_dim1_sp_op_CI_CI
; %bb.0:
	s_load_dwordx4 s[12:15], s[4:5], 0x28
	v_mul_u32_u24_e32 v1, 0x556, v0
	v_add_u32_sdwa v64, s6, v1 dst_sel:DWORD dst_unused:UNUSED_PAD src0_sel:DWORD src1_sel:WORD_1
	v_mov_b32_e32 v65, 0
	s_waitcnt lgkmcnt(0)
	v_cmp_gt_u64_e32 vcc, s[12:13], v[64:65]
	s_and_saveexec_b64 s[0:1], vcc
	s_cbranch_execz .LBB0_31
; %bb.1:
	s_load_dwordx4 s[0:3], s[4:5], 0x18
	s_load_dwordx2 s[12:13], s[4:5], 0x0
	v_mov_b32_e32 v2, 48
	v_mul_lo_u16_sdwa v1, v1, v2 dst_sel:DWORD dst_unused:UNUSED_PAD src0_sel:WORD_1 src1_sel:DWORD
	v_sub_u16_e32 v74, v0, v1
	s_waitcnt lgkmcnt(0)
	s_load_dwordx4 s[8:11], s[0:1], 0x0
	v_lshlrev_b32_e32 v73, 3, v74
	global_load_dwordx2 v[69:70], v73, s[12:13]
	global_load_dwordx2 v[67:68], v73, s[12:13] offset:1056
	global_load_dwordx2 v[62:63], v73, s[12:13] offset:2112
	s_waitcnt lgkmcnt(0)
	v_mad_u64_u32 v[0:1], s[0:1], s10, v64, 0
	v_mad_u64_u32 v[2:3], s[0:1], s8, v74, 0
	v_mov_b32_e32 v18, s13
	v_mad_u64_u32 v[4:5], s[0:1], s11, v64, v[1:2]
	v_mad_u64_u32 v[5:6], s[0:1], s9, v74, v[3:4]
	v_mov_b32_e32 v1, v4
	v_lshlrev_b64 v[0:1], 3, v[0:1]
	v_mov_b32_e32 v6, s15
	v_mov_b32_e32 v3, v5
	v_add_co_u32_e32 v4, vcc, s14, v0
	v_addc_co_u32_e32 v5, vcc, v6, v1, vcc
	v_lshlrev_b64 v[0:1], 3, v[2:3]
	s_mul_i32 s0, s9, 0x84
	s_mul_hi_u32 s1, s8, 0x84
	v_add_co_u32_e32 v0, vcc, v4, v0
	s_add_i32 s1, s1, s0
	s_mul_i32 s0, s8, 0x84
	v_addc_co_u32_e32 v1, vcc, v5, v1, vcc
	s_lshl_b64 s[14:15], s[0:1], 3
	v_mov_b32_e32 v16, s15
	v_add_co_u32_e32 v2, vcc, s14, v0
	v_addc_co_u32_e32 v3, vcc, v1, v16, vcc
	v_add_co_u32_e32 v4, vcc, s14, v2
	s_mul_hi_u32 s1, s8, 0xfffffea4
	v_addc_co_u32_e32 v5, vcc, v3, v16, vcc
	s_mul_i32 s0, s9, 0xfffffea4
	s_sub_i32 s1, s1, s8
	v_add_co_u32_e32 v6, vcc, s14, v4
	s_add_i32 s1, s1, s0
	s_mul_i32 s0, s8, 0xfffffea4
	v_addc_co_u32_e32 v7, vcc, v5, v16, vcc
	s_lshl_b64 s[16:17], s[0:1], 3
	global_load_dwordx2 v[8:9], v[0:1], off
	global_load_dwordx2 v[10:11], v[2:3], off
	;; [unrolled: 1-line block ×4, first 2 shown]
	global_load_dwordx2 v[60:61], v73, s[12:13] offset:3168
	v_mov_b32_e32 v1, s17
	v_add_co_u32_e32 v0, vcc, s16, v6
	v_addc_co_u32_e32 v1, vcc, v7, v1, vcc
	global_load_dwordx2 v[2:3], v[0:1], off
	global_load_dwordx2 v[56:57], v73, s[12:13] offset:1440
	global_load_dwordx2 v[65:66], v73, s[12:13] offset:384
	v_add_co_u32_e32 v0, vcc, s14, v0
	v_addc_co_u32_e32 v1, vcc, v1, v16, vcc
	global_load_dwordx2 v[4:5], v[0:1], off
	v_add_co_u32_e32 v0, vcc, s14, v0
	v_addc_co_u32_e32 v1, vcc, v1, v16, vcc
	global_load_dwordx2 v[6:7], v[0:1], off
	global_load_dwordx2 v[54:55], v73, s[12:13] offset:3552
	global_load_dwordx2 v[58:59], v73, s[12:13] offset:2496
	v_add_co_u32_e32 v0, vcc, s14, v0
	v_addc_co_u32_e32 v1, vcc, v1, v16, vcc
	global_load_dwordx2 v[16:17], v[0:1], off
	s_load_dwordx2 s[6:7], s[4:5], 0x38
	s_load_dwordx4 s[8:11], s[2:3], 0x0
	v_add_co_u32_e64 v52, s[2:3], s12, v73
	v_addc_co_u32_e64 v53, vcc, 0, v18, s[2:3]
	v_cmp_gt_u16_e64 s[0:1], 36, v74
	s_waitcnt vmcnt(12)
	v_mul_f32_e32 v18, v9, v70
	v_mul_f32_e32 v19, v8, v70
	v_fmac_f32_e32 v18, v8, v69
	v_fma_f32 v19, v9, v69, -v19
	s_waitcnt vmcnt(11)
	v_mul_f32_e32 v8, v11, v68
	v_mul_f32_e32 v9, v10, v68
	v_fmac_f32_e32 v8, v10, v67
	v_fma_f32 v9, v11, v67, -v9
	ds_write_b64 v73, v[8:9] offset:1056
	s_waitcnt vmcnt(8)
	v_mul_f32_e32 v8, v15, v61
	v_mul_f32_e32 v9, v14, v61
	v_fmac_f32_e32 v8, v14, v60
	v_fma_f32 v9, v15, v60, -v9
	ds_write_b64 v73, v[8:9] offset:3168
	s_waitcnt vmcnt(5)
	v_mul_f32_e32 v8, v3, v66
	v_fmac_f32_e32 v8, v2, v65
	v_mul_f32_e32 v2, v2, v66
	v_mul_f32_e32 v10, v13, v63
	;; [unrolled: 1-line block ×3, first 2 shown]
	v_fma_f32 v9, v3, v65, -v2
	s_waitcnt vmcnt(4)
	v_mul_f32_e32 v2, v5, v57
	v_mul_f32_e32 v3, v4, v57
	v_fmac_f32_e32 v10, v12, v62
	v_fma_f32 v11, v13, v62, -v11
	v_fmac_f32_e32 v2, v4, v56
	v_fma_f32 v3, v5, v56, -v3
	ds_write_b64 v73, v[10:11] offset:2112
	ds_write2_b64 v73, v[18:19], v[8:9] offset1:48
	ds_write_b64 v73, v[2:3] offset:1440
	s_waitcnt vmcnt(1)
	v_mul_f32_e32 v2, v7, v59
	v_mul_f32_e32 v3, v6, v59
	v_fmac_f32_e32 v2, v6, v58
	v_fma_f32 v3, v7, v58, -v3
	ds_write_b64 v73, v[2:3] offset:2496
	s_waitcnt vmcnt(0)
	v_mul_f32_e32 v2, v17, v55
	v_mul_f32_e32 v3, v16, v55
	v_fmac_f32_e32 v2, v16, v54
	v_fma_f32 v3, v17, v54, -v3
	ds_write_b64 v73, v[2:3] offset:3552
	s_and_saveexec_b64 s[18:19], s[0:1]
	s_cbranch_execz .LBB0_3
; %bb.2:
	v_mov_b32_e32 v2, s17
	v_add_co_u32_e32 v0, vcc, s16, v0
	v_addc_co_u32_e32 v1, vcc, v1, v2, vcc
	global_load_dwordx2 v[2:3], v[0:1], off
	v_mov_b32_e32 v14, s15
	v_add_co_u32_e32 v0, vcc, s14, v0
	v_addc_co_u32_e32 v1, vcc, v1, v14, vcc
	global_load_dwordx2 v[4:5], v[0:1], off
	global_load_dwordx2 v[6:7], v[52:53], off offset:768
	global_load_dwordx2 v[8:9], v[52:53], off offset:1824
	v_add_co_u32_e32 v0, vcc, s14, v0
	v_addc_co_u32_e32 v1, vcc, v1, v14, vcc
	global_load_dwordx2 v[10:11], v[0:1], off
	global_load_dwordx2 v[12:13], v[52:53], off offset:2880
	v_add_co_u32_e32 v0, vcc, s14, v0
	v_addc_co_u32_e32 v1, vcc, v1, v14, vcc
	global_load_dwordx2 v[14:15], v[52:53], off offset:3936
	global_load_dwordx2 v[16:17], v[0:1], off
	s_waitcnt vmcnt(5)
	v_mul_f32_e32 v0, v3, v7
	v_mul_f32_e32 v1, v2, v7
	v_fmac_f32_e32 v0, v2, v6
	v_fma_f32 v1, v3, v6, -v1
	s_waitcnt vmcnt(4)
	v_mul_f32_e32 v2, v5, v9
	v_mul_f32_e32 v3, v4, v9
	v_fmac_f32_e32 v2, v4, v8
	v_fma_f32 v3, v5, v8, -v3
	s_waitcnt vmcnt(2)
	v_mul_f32_e32 v4, v11, v13
	v_mul_f32_e32 v5, v10, v13
	ds_write2_b64 v73, v[0:1], v[2:3] offset0:96 offset1:228
	s_waitcnt vmcnt(0)
	v_mul_f32_e32 v0, v17, v15
	v_mul_f32_e32 v1, v16, v15
	v_fmac_f32_e32 v4, v10, v12
	v_fma_f32 v5, v11, v12, -v5
	v_fmac_f32_e32 v0, v16, v14
	v_fma_f32 v1, v17, v14, -v1
	v_add_u32_e32 v2, 0x800, v73
	ds_write2_b64 v2, v[4:5], v[0:1] offset0:104 offset1:236
.LBB0_3:
	s_or_b64 exec, exec, s[18:19]
	v_add_u32_e32 v12, 0x800, v73
	s_waitcnt lgkmcnt(0)
	; wave barrier
	s_waitcnt lgkmcnt(0)
	ds_read2_b64 v[8:11], v73 offset1:48
	ds_read2_b64 v[4:7], v73 offset0:132 offset1:180
	ds_read2_b64 v[20:23], v12 offset0:8 offset1:56
	;; [unrolled: 1-line block ×3, first 2 shown]
                                        ; implicit-def: $vgpr14
                                        ; implicit-def: $vgpr2
	s_and_saveexec_b64 s[14:15], s[0:1]
	s_cbranch_execz .LBB0_5
; %bb.4:
	ds_read2_b64 v[0:3], v73 offset0:96 offset1:228
	ds_read2_b64 v[12:15], v12 offset0:104 offset1:236
.LBB0_5:
	s_or_b64 exec, exec, s[14:15]
	s_waitcnt lgkmcnt(1)
	v_sub_f32_e32 v20, v8, v20
	v_sub_f32_e32 v21, v9, v21
	s_waitcnt lgkmcnt(0)
	v_sub_f32_e32 v16, v4, v16
	v_sub_f32_e32 v17, v5, v17
	v_fma_f32 v8, v8, 2.0, -v20
	v_fma_f32 v9, v9, 2.0, -v21
	;; [unrolled: 1-line block ×4, first 2 shown]
	v_sub_f32_e32 v24, v8, v4
	v_sub_f32_e32 v25, v9, v5
	;; [unrolled: 1-line block ×4, first 2 shown]
	v_fma_f32 v34, v8, 2.0, -v24
	v_fma_f32 v35, v9, 2.0, -v25
	;; [unrolled: 1-line block ×4, first 2 shown]
	v_sub_f32_e32 v10, v6, v18
	v_sub_f32_e32 v11, v7, v19
	s_load_dwordx2 s[14:15], s[4:5], 0x8
	v_fma_f32 v6, v6, 2.0, -v10
	v_fma_f32 v7, v7, 2.0, -v11
	v_sub_f32_e32 v26, v20, v17
	v_add_f32_e32 v27, v21, v16
	v_sub_f32_e32 v16, v8, v6
	v_sub_f32_e32 v17, v9, v7
	;; [unrolled: 1-line block ×3, first 2 shown]
	v_add_f32_e32 v19, v5, v10
	v_sub_f32_e32 v6, v0, v12
	v_sub_f32_e32 v7, v1, v13
	;; [unrolled: 1-line block ×4, first 2 shown]
	v_fma_f32 v0, v0, 2.0, -v6
	v_fma_f32 v1, v1, 2.0, -v7
	;; [unrolled: 1-line block ×4, first 2 shown]
	v_add_co_u32_e32 v33, vcc, 48, v74
	v_add_co_u32_e32 v32, vcc, 0x60, v74
	v_fma_f32 v36, v20, 2.0, -v26
	v_fma_f32 v37, v21, 2.0, -v27
	;; [unrolled: 1-line block ×4, first 2 shown]
	v_sub_f32_e32 v8, v0, v2
	v_sub_f32_e32 v9, v1, v3
	;; [unrolled: 1-line block ×3, first 2 shown]
	v_add_f32_e32 v11, v11, v7
	v_fma_f32 v22, v4, 2.0, -v18
	v_fma_f32 v23, v5, 2.0, -v19
	;; [unrolled: 1-line block ×6, first 2 shown]
	v_lshlrev_b32_e32 v31, 2, v74
	v_lshlrev_b32_e32 v77, 5, v74
	v_lshlrev_b32_e32 v30, 2, v33
	v_lshlrev_b32_e32 v78, 5, v33
	v_lshlrev_b32_e32 v76, 5, v32
	s_waitcnt lgkmcnt(0)
	; wave barrier
	s_waitcnt lgkmcnt(0)
	ds_write_b128 v77, v[34:37]
	ds_write_b128 v77, v[24:27] offset:16
	ds_write_b128 v78, v[20:23]
	ds_write_b128 v78, v[16:19] offset:16
	s_and_saveexec_b64 s[4:5], s[0:1]
	s_cbranch_execz .LBB0_7
; %bb.6:
	ds_write_b128 v76, v[4:7]
	ds_write_b128 v76, v[8:11] offset:16
.LBB0_7:
	s_or_b64 exec, exec, s[4:5]
	v_add_u32_e32 v0, 0x800, v73
	s_waitcnt lgkmcnt(0)
	; wave barrier
	s_waitcnt lgkmcnt(0)
	ds_read2_b64 v[12:15], v73 offset1:48
	ds_read2_b64 v[20:23], v73 offset0:132 offset1:180
	ds_read2_b64 v[24:27], v0 offset0:8 offset1:56
	;; [unrolled: 1-line block ×3, first 2 shown]
	s_and_saveexec_b64 s[4:5], s[0:1]
	s_cbranch_execz .LBB0_9
; %bb.8:
	ds_read2_b64 v[4:7], v73 offset0:96 offset1:228
	ds_read2_b64 v[8:11], v0 offset0:104 offset1:236
.LBB0_9:
	s_or_b64 exec, exec, s[4:5]
	v_and_b32_e32 v75, 3, v74
	v_mad_u64_u32 v[28:29], s[4:5], v75, 24, s[14:15]
	s_movk_i32 s4, 0xf0
	v_lshlrev_b32_e32 v82, 2, v32
	global_load_dwordx2 v[71:72], v[28:29], off offset:16
	global_load_dwordx4 v[0:3], v[28:29], off
	s_waitcnt lgkmcnt(0)
	; wave barrier
	s_waitcnt vmcnt(1) lgkmcnt(0)
	v_mul_f32_e32 v34, v18, v72
	s_waitcnt vmcnt(0)
	v_mul_f32_e32 v28, v21, v1
	v_fma_f32 v28, v20, v0, -v28
	v_mul_f32_e32 v20, v20, v1
	v_fmac_f32_e32 v20, v21, v0
	v_mul_f32_e32 v21, v25, v3
	v_fma_f32 v21, v24, v2, -v21
	v_mul_f32_e32 v24, v24, v3
	v_fmac_f32_e32 v24, v25, v2
	;; [unrolled: 4-line block ×3, first 2 shown]
	v_mul_f32_e32 v17, v23, v1
	v_fma_f32 v29, v22, v0, -v17
	v_mul_f32_e32 v22, v22, v1
	v_mul_f32_e32 v17, v27, v3
	v_fmac_f32_e32 v22, v23, v0
	v_fma_f32 v23, v26, v2, -v17
	v_mul_f32_e32 v26, v26, v3
	v_mul_f32_e32 v17, v19, v72
	v_fmac_f32_e32 v26, v27, v2
	v_fma_f32 v27, v18, v71, -v17
	v_mul_f32_e32 v17, v7, v1
	v_fma_f32 v35, v6, v0, -v17
	v_mul_f32_e32 v36, v6, v1
	v_mul_f32_e32 v6, v9, v3
	v_fma_f32 v37, v8, v2, -v6
	v_mul_f32_e32 v8, v8, v3
	v_mul_f32_e32 v6, v11, v72
	v_fmac_f32_e32 v8, v9, v2
	v_fma_f32 v9, v10, v71, -v6
	v_mul_f32_e32 v10, v10, v72
	v_fmac_f32_e32 v10, v11, v71
	v_sub_f32_e32 v11, v12, v21
	v_sub_f32_e32 v16, v20, v16
	v_fmac_f32_e32 v36, v7, v0
	v_fma_f32 v7, v20, 2.0, -v16
	v_sub_f32_e32 v16, v11, v16
	v_fmac_f32_e32 v34, v19, v71
	v_sub_f32_e32 v19, v13, v24
	v_fma_f32 v12, v12, 2.0, -v11
	v_sub_f32_e32 v17, v28, v25
	v_fma_f32 v18, v11, 2.0, -v16
	v_sub_f32_e32 v11, v14, v23
	v_sub_f32_e32 v25, v15, v26
	;; [unrolled: 1-line block ×7, first 2 shown]
	v_fma_f32 v13, v13, 2.0, -v19
	v_fma_f32 v6, v28, 2.0, -v17
	v_sub_f32_e32 v28, v26, v9
	v_sub_f32_e32 v6, v12, v6
	;; [unrolled: 1-line block ×3, first 2 shown]
	v_add_f32_e32 v17, v19, v17
	v_fma_f32 v20, v14, 2.0, -v11
	v_sub_f32_e32 v24, v22, v34
	v_fma_f32 v14, v29, 2.0, -v23
	v_fma_f32 v4, v4, 2.0, -v26
	;; [unrolled: 1-line block ×3, first 2 shown]
	v_add_f32_e32 v29, v27, v8
	v_fma_f32 v8, v26, 2.0, -v28
	v_and_or_b32 v26, v31, s4, v75
	v_fma_f32 v12, v12, 2.0, -v6
	v_fma_f32 v13, v13, 2.0, -v7
	;; [unrolled: 1-line block ×5, first 2 shown]
	v_sub_f32_e32 v22, v11, v24
	v_lshlrev_b32_e32 v80, 3, v26
	s_movk_i32 s4, 0x1f0
	v_sub_f32_e32 v14, v20, v14
	v_sub_f32_e32 v15, v21, v15
	v_add_f32_e32 v23, v25, v23
	v_fma_f32 v24, v11, 2.0, -v22
	v_fma_f32 v5, v5, 2.0, -v27
	v_fma_f32 v11, v36, 2.0, -v9
	ds_write2_b64 v80, v[12:13], v[18:19] offset1:4
	ds_write2_b64 v80, v[6:7], v[16:17] offset0:8 offset1:12
	v_and_or_b32 v6, v30, s4, v75
	v_fma_f32 v20, v20, 2.0, -v14
	v_fma_f32 v21, v21, 2.0, -v15
	;; [unrolled: 1-line block ×3, first 2 shown]
	v_sub_f32_e32 v10, v4, v10
	v_sub_f32_e32 v11, v5, v11
	v_fma_f32 v9, v27, 2.0, -v29
	v_lshlrev_b32_e32 v81, 3, v6
	ds_write2_b64 v81, v[20:21], v[24:25] offset1:4
	ds_write2_b64 v81, v[14:15], v[22:23] offset0:8 offset1:12
	s_and_saveexec_b64 s[4:5], s[0:1]
	s_cbranch_execz .LBB0_11
; %bb.10:
	s_movk_i32 s12, 0x3f0
	v_and_or_b32 v6, v82, s12, v75
	v_fma_f32 v5, v5, 2.0, -v11
	v_fma_f32 v4, v4, 2.0, -v10
	v_lshlrev_b32_e32 v6, 3, v6
	ds_write2_b64 v6, v[4:5], v[8:9] offset1:4
	ds_write2_b64 v6, v[10:11], v[28:29] offset0:8 offset1:12
.LBB0_11:
	s_or_b64 exec, exec, s[4:5]
	v_add_u32_e32 v4, 0x800, v73
	s_waitcnt lgkmcnt(0)
	; wave barrier
	s_waitcnt lgkmcnt(0)
	ds_read2_b64 v[16:19], v73 offset1:48
	ds_read2_b64 v[12:15], v73 offset0:96 offset1:176
	ds_read2_b64 v[20:23], v4 offset0:96 offset1:144
	v_add_u32_e32 v4, 0x400, v73
	ds_read2_b64 v[24:27], v4 offset0:96 offset1:144
	ds_read_b64 v[30:31], v73 offset:3584
	v_cmp_gt_u16_e32 vcc, 32, v74
	s_and_saveexec_b64 s[4:5], vcc
	s_cbranch_execz .LBB0_13
; %bb.12:
	ds_read2_b64 v[8:11], v4 offset0:16 offset1:192
	ds_read_b64 v[28:29], v73 offset:3968
.LBB0_13:
	s_or_b64 exec, exec, s[4:5]
	v_and_b32_e32 v79, 15, v74
	v_lshlrev_b32_e32 v4, 4, v79
	global_load_dwordx4 v[4:7], v4, s[14:15] offset:96
	s_waitcnt lgkmcnt(0)
	; wave barrier
	s_waitcnt lgkmcnt(0)
	s_movk_i32 s4, 0x90
	v_add_co_u32_e64 v40, s[4:5], s4, v74
	v_lshrrev_b32_e32 v83, 4, v40
	s_waitcnt vmcnt(0)
	v_mul_f32_e32 v37, v14, v5
	v_mul_f32_e32 v38, v21, v7
	;; [unrolled: 1-line block ×10, first 2 shown]
	v_fmac_f32_e32 v37, v15, v4
	v_fma_f32 v15, v20, v6, -v38
	v_fma_f32 v20, v24, v4, -v41
	;; [unrolled: 1-line block ×3, first 2 shown]
	v_mul_f32_e32 v48, v30, v7
	v_mul_f32_e32 v49, v11, v5
	;; [unrolled: 1-line block ×3, first 2 shown]
	v_fma_f32 v14, v14, v4, -v36
	v_fmac_f32_e32 v42, v25, v4
	v_fmac_f32_e32 v44, v23, v6
	;; [unrolled: 1-line block ×3, first 2 shown]
	v_fma_f32 v11, v28, v6, -v50
	v_add_f32_e32 v28, v20, v24
	v_mul_f32_e32 v47, v31, v7
	v_fmac_f32_e32 v48, v31, v6
	v_add_f32_e32 v22, v16, v14
	v_add_f32_e32 v23, v14, v15
	v_sub_f32_e32 v31, v14, v15
	v_add_f32_e32 v14, v18, v20
	v_add_f32_e32 v36, v42, v44
	v_fma_f32 v18, -0.5, v28, v18
	v_mul_f32_e32 v46, v26, v5
	v_fmac_f32_e32 v39, v21, v6
	v_fmac_f32_e32 v35, v29, v6
	v_sub_f32_e32 v41, v42, v44
	v_add_f32_e32 v29, v19, v42
	v_fmac_f32_e32 v19, -0.5, v36
	v_mov_b32_e32 v36, v18
	v_mul_f32_e32 v45, v27, v5
	v_fmac_f32_e32 v46, v27, v4
	v_add_f32_e32 v27, v37, v39
	v_fmac_f32_e32 v18, 0xbf5db3d7, v41
	v_fmac_f32_e32 v36, 0x3f5db3d7, v41
	v_lshrrev_b32_e32 v41, 4, v74
	v_fma_f32 v21, v26, v4, -v45
	v_fma_f32 v26, v30, v6, -v47
	v_add_f32_e32 v25, v17, v37
	v_sub_f32_e32 v42, v20, v24
	v_add_f32_e32 v20, v22, v15
	v_fma_f32 v22, -0.5, v23, v16
	v_fma_f32 v23, -0.5, v27, v17
	v_mul_u32_u24_e32 v41, 48, v41
	v_sub_f32_e32 v30, v37, v39
	v_add_f32_e32 v37, v12, v21
	v_add_f32_e32 v38, v21, v26
	v_sub_f32_e32 v47, v21, v26
	v_add_f32_e32 v21, v25, v39
	v_add_f32_e32 v25, v29, v44
	v_mov_b32_e32 v28, v22
	v_mov_b32_e32 v29, v23
	v_or_b32_e32 v41, v41, v79
	v_fmac_f32_e32 v28, 0x3f5db3d7, v30
	v_fmac_f32_e32 v29, 0xbf5db3d7, v31
	v_lshlrev_b32_e32 v84, 3, v41
	v_fmac_f32_e32 v22, 0xbf5db3d7, v30
	v_fmac_f32_e32 v23, 0x3f5db3d7, v31
	ds_write2_b64 v84, v[20:21], v[28:29] offset1:16
	ds_write_b64 v84, v[22:23] offset:256
	v_lshrrev_b32_e32 v20, 4, v33
	v_mul_u32_u24_e32 v20, 48, v20
	v_add_f32_e32 v26, v37, v26
	v_mov_b32_e32 v37, v19
	v_or_b32_e32 v20, v20, v79
	v_fma_f32 v10, v10, v4, -v49
	v_add_f32_e32 v24, v14, v24
	v_fmac_f32_e32 v37, 0xbf5db3d7, v42
	v_lshlrev_b32_e32 v85, 3, v20
	v_sub_f32_e32 v43, v46, v48
	v_add_f32_e32 v45, v13, v46
	v_add_f32_e32 v46, v46, v48
	v_add_f32_e32 v49, v10, v11
	v_fmac_f32_e32 v19, 0x3f5db3d7, v42
	v_add_f32_e32 v16, v34, v35
	ds_write2_b64 v85, v[24:25], v[36:37] offset1:16
	ds_write_b64 v85, v[18:19] offset:256
	v_lshrrev_b32_e32 v18, 4, v32
	v_fma_f32 v12, -0.5, v38, v12
	v_fmac_f32_e32 v13, -0.5, v46
	v_fma_f32 v14, -0.5, v49, v8
	v_fma_f32 v16, -0.5, v16, v9
	v_mul_u32_u24_e32 v18, 48, v18
	v_mov_b32_e32 v38, v12
	v_mov_b32_e32 v39, v13
	v_sub_f32_e32 v15, v34, v35
	v_mov_b32_e32 v30, v14
	v_sub_f32_e32 v17, v10, v11
	v_mov_b32_e32 v31, v16
	v_or_b32_e32 v18, v18, v79
	v_add_f32_e32 v27, v45, v48
	v_fmac_f32_e32 v38, 0x3f5db3d7, v43
	v_fmac_f32_e32 v39, 0xbf5db3d7, v47
	;; [unrolled: 1-line block ×4, first 2 shown]
	v_lshlrev_b32_e32 v86, 3, v18
	v_fmac_f32_e32 v12, 0xbf5db3d7, v43
	v_fmac_f32_e32 v13, 0x3f5db3d7, v47
	ds_write2_b64 v86, v[26:27], v[38:39] offset1:16
	ds_write_b64 v86, v[12:13] offset:256
	s_and_saveexec_b64 s[4:5], vcc
	s_cbranch_execz .LBB0_15
; %bb.14:
	v_add_f32_e32 v8, v8, v10
	v_mul_u32_u24_e32 v10, 48, v83
	v_mul_f32_e32 v12, 0x3f5db3d7, v15
	v_mul_f32_e32 v13, 0x3f5db3d7, v17
	v_add_f32_e32 v9, v9, v34
	v_or_b32_e32 v10, v10, v79
	v_sub_f32_e32 v13, v16, v13
	v_add_f32_e32 v12, v12, v14
	v_add_f32_e32 v9, v9, v35
	;; [unrolled: 1-line block ×3, first 2 shown]
	v_lshlrev_b32_e32 v10, 3, v10
	ds_write2_b64 v10, v[8:9], v[12:13] offset1:16
	ds_write_b64 v10, v[30:31] offset:256
.LBB0_15:
	s_or_b64 exec, exec, s[4:5]
	v_mov_b32_e32 v8, s14
	s_movk_i32 s4, 0x50
	v_mov_b32_e32 v9, s15
	v_mad_u64_u32 v[28:29], s[4:5], v74, s4, v[8:9]
	s_waitcnt lgkmcnt(0)
	; wave barrier
	s_waitcnt lgkmcnt(0)
	global_load_dwordx4 v[20:23], v[28:29], off offset:352
	global_load_dwordx4 v[16:19], v[28:29], off offset:368
	;; [unrolled: 1-line block ×5, first 2 shown]
	ds_read2_b64 v[32:35], v73 offset1:48
	ds_read2_b64 v[36:39], v73 offset0:96 offset1:144
	ds_read2_b64 v[40:43], v73 offset0:192 offset1:240
	ds_read_b64 v[28:29], v73 offset:3840
	v_mov_b32_e32 v45, s13
	v_add_u32_e32 v44, 0x800, v73
	v_addc_co_u32_e64 v51, s[2:3], 0, v45, s[2:3]
	ds_read2_b64 v[45:48], v44 offset0:32 offset1:80
	ds_read2_b64 v[87:90], v44 offset0:128 offset1:176
	s_mov_b32 s4, 0x3f575c64
	s_mov_b32 s2, 0x3ed4b147
	s_mov_b32 s3, 0xbe11bafb
	s_mov_b32 s5, 0xbf27a4f4
	s_mov_b32 s12, 0xbf75a155
	s_waitcnt vmcnt(4) lgkmcnt(5)
	v_mul_f32_e32 v50, v34, v21
	s_waitcnt lgkmcnt(4)
	v_mul_f32_e32 v91, v37, v23
	v_mul_f32_e32 v92, v36, v23
	v_fmac_f32_e32 v50, v35, v20
	v_mul_f32_e32 v49, v35, v21
	s_waitcnt vmcnt(3)
	v_mul_f32_e32 v94, v38, v17
	v_fma_f32 v35, v36, v22, -v91
	v_fmac_f32_e32 v92, v37, v22
	v_add_f32_e32 v36, v33, v50
	s_waitcnt lgkmcnt(3)
	v_mul_f32_e32 v96, v40, v19
	s_waitcnt vmcnt(0) lgkmcnt(2)
	v_mul_f32_e32 v108, v28, v27
	v_fma_f32 v34, v34, v20, -v49
	v_fmac_f32_e32 v94, v39, v16
	v_add_f32_e32 v36, v36, v92
	v_mul_f32_e32 v93, v39, v17
	v_mul_f32_e32 v98, v42, v13
	;; [unrolled: 1-line block ×3, first 2 shown]
	v_fmac_f32_e32 v96, v41, v18
	v_fmac_f32_e32 v108, v29, v26
	v_add_f32_e32 v29, v32, v34
	v_add_f32_e32 v36, v36, v94
	v_mul_f32_e32 v95, v41, v19
	s_waitcnt lgkmcnt(1)
	v_mul_f32_e32 v100, v45, v15
	v_fma_f32 v38, v38, v16, -v93
	v_fmac_f32_e32 v98, v43, v12
	v_add_f32_e32 v29, v29, v35
	v_add_f32_e32 v36, v36, v96
	v_mul_f32_e32 v97, v43, v13
	v_mul_f32_e32 v102, v47, v9
	v_fma_f32 v39, v40, v18, -v95
	v_fmac_f32_e32 v100, v46, v14
	v_add_f32_e32 v29, v29, v38
	v_add_f32_e32 v36, v36, v98
	v_mul_f32_e32 v99, v46, v15
	v_mul_f32_e32 v101, v48, v9
	s_waitcnt lgkmcnt(0)
	v_mul_f32_e32 v104, v87, v11
	v_fma_f32 v40, v42, v12, -v97
	v_fmac_f32_e32 v102, v48, v8
	v_fma_f32 v28, v28, v26, -v107
	v_sub_f32_e32 v48, v50, v108
	v_add_f32_e32 v29, v29, v39
	v_add_f32_e32 v36, v36, v100
	v_mul_f32_e32 v106, v89, v25
	v_fma_f32 v41, v45, v14, -v99
	v_fmac_f32_e32 v104, v88, v10
	v_add_f32_e32 v46, v34, v28
	v_mul_f32_e32 v37, 0xbf0a6770, v48
	v_add_f32_e32 v29, v29, v40
	v_add_f32_e32 v36, v36, v102
	v_mul_f32_e32 v103, v88, v11
	v_mul_f32_e32 v105, v90, v25
	v_fma_f32 v42, v47, v8, -v101
	v_fmac_f32_e32 v106, v90, v24
	v_add_f32_e32 v47, v50, v108
	v_sub_f32_e32 v34, v34, v28
	v_fma_f32 v50, v46, s4, -v37
	v_fmac_f32_e32 v37, 0x3f575c64, v46
	v_add_f32_e32 v29, v29, v41
	v_add_f32_e32 v36, v36, v104
	v_fma_f32 v43, v87, v10, -v103
	v_fma_f32 v45, v89, v24, -v105
	v_mul_f32_e32 v49, 0xbf0a6770, v34
	v_add_f32_e32 v88, v32, v37
	v_add_f32_e32 v29, v29, v42
	;; [unrolled: 1-line block ×3, first 2 shown]
	v_mul_f32_e32 v89, 0xbf68dda4, v34
	v_mul_f32_e32 v95, 0xbf7d64f0, v34
	;; [unrolled: 1-line block ×4, first 2 shown]
	v_mov_b32_e32 v87, v49
	v_add_f32_e32 v29, v29, v43
	v_add_f32_e32 v37, v37, v108
	v_mov_b32_e32 v90, v89
	v_mov_b32_e32 v97, v95
	;; [unrolled: 1-line block ×4, first 2 shown]
	v_fma_f32 v49, v47, s4, -v49
	v_fmac_f32_e32 v87, 0x3f575c64, v47
	v_add_f32_e32 v29, v29, v45
	v_fmac_f32_e32 v90, 0x3ed4b147, v47
	v_fma_f32 v89, v47, s2, -v89
	v_fmac_f32_e32 v97, 0xbe11bafb, v47
	v_fma_f32 v95, v47, s3, -v95
	;; [unrolled: 2-line block ×4, first 2 shown]
	v_add_f32_e32 v49, v33, v49
	v_add_f32_e32 v87, v33, v87
	v_add_f32_e32 v36, v29, v28
	v_mul_f32_e32 v28, 0xbf68dda4, v48
	v_add_f32_e32 v90, v33, v90
	v_add_f32_e32 v89, v33, v89
	v_mul_f32_e32 v91, 0xbf7d64f0, v48
	v_add_f32_e32 v97, v33, v97
	v_add_f32_e32 v95, v33, v95
	;; [unrolled: 3-line block ×4, first 2 shown]
	v_add_f32_e32 v34, v35, v45
	v_sub_f32_e32 v35, v35, v45
	v_sub_f32_e32 v45, v92, v106
	v_fma_f32 v29, v46, s2, -v28
	v_fmac_f32_e32 v28, 0x3ed4b147, v46
	v_fma_f32 v93, v46, s3, -v91
	v_fmac_f32_e32 v91, 0xbe11bafb, v46
	;; [unrolled: 2-line block ×4, first 2 shown]
	v_mul_f32_e32 v47, 0xbf68dda4, v45
	v_add_f32_e32 v50, v32, v50
	v_add_f32_e32 v29, v32, v29
	;; [unrolled: 1-line block ×9, first 2 shown]
	v_fma_f32 v48, v34, s2, -v47
	v_add_f32_e32 v46, v92, v106
	v_add_f32_e32 v48, v48, v50
	v_mul_f32_e32 v50, 0xbf68dda4, v35
	v_mov_b32_e32 v92, v50
	v_fma_f32 v50, v46, s2, -v50
	v_fmac_f32_e32 v47, 0x3ed4b147, v34
	v_add_f32_e32 v49, v50, v49
	v_mul_f32_e32 v50, 0xbf4178ce, v45
	v_add_f32_e32 v47, v47, v88
	v_fma_f32 v88, v34, s5, -v50
	v_fmac_f32_e32 v92, 0x3ed4b147, v46
	v_add_f32_e32 v29, v88, v29
	v_mul_f32_e32 v88, 0xbf4178ce, v35
	v_add_f32_e32 v87, v92, v87
	v_mov_b32_e32 v92, v88
	v_fmac_f32_e32 v50, 0xbf27a4f4, v34
	v_fmac_f32_e32 v92, 0xbf27a4f4, v46
	v_add_f32_e32 v28, v50, v28
	v_fma_f32 v50, v46, s5, -v88
	v_mul_f32_e32 v88, 0x3e903f40, v45
	v_add_f32_e32 v90, v92, v90
	v_add_f32_e32 v50, v50, v89
	v_fma_f32 v89, v34, s12, -v88
	v_mul_f32_e32 v92, 0x3e903f40, v35
	v_add_f32_e32 v89, v89, v93
	v_mov_b32_e32 v93, v92
	v_fmac_f32_e32 v88, 0xbf75a155, v34
	v_fmac_f32_e32 v93, 0xbf75a155, v46
	v_add_f32_e32 v88, v88, v91
	v_fma_f32 v91, v46, s12, -v92
	v_mul_f32_e32 v92, 0x3f7d64f0, v45
	v_add_f32_e32 v93, v93, v97
	v_add_f32_e32 v91, v91, v95
	v_fma_f32 v95, v34, s3, -v92
	v_mul_f32_e32 v97, 0x3f7d64f0, v35
	v_fmac_f32_e32 v92, 0xbe11bafb, v34
	v_mul_f32_e32 v45, 0x3f0a6770, v45
	v_mul_f32_e32 v35, 0x3f0a6770, v35
	v_add_f32_e32 v92, v92, v99
	v_fma_f32 v99, v34, s4, -v45
	v_fmac_f32_e32 v45, 0x3f575c64, v34
	v_fma_f32 v34, v46, s4, -v35
	v_add_f32_e32 v95, v95, v101
	v_mov_b32_e32 v101, v97
	v_fma_f32 v97, v46, s3, -v97
	v_add_f32_e32 v33, v34, v33
	v_add_f32_e32 v34, v38, v43
	v_sub_f32_e32 v38, v38, v43
	v_sub_f32_e32 v43, v94, v104
	v_add_f32_e32 v97, v97, v103
	v_mov_b32_e32 v103, v35
	v_add_f32_e32 v32, v45, v32
	v_mul_f32_e32 v45, 0xbf7d64f0, v43
	v_fmac_f32_e32 v101, 0xbe11bafb, v46
	v_fmac_f32_e32 v103, 0x3f575c64, v46
	v_fma_f32 v46, v34, s3, -v45
	v_add_f32_e32 v35, v94, v104
	v_add_f32_e32 v46, v46, v48
	v_mul_f32_e32 v48, 0xbf7d64f0, v38
	v_fmac_f32_e32 v45, 0xbe11bafb, v34
	v_mov_b32_e32 v94, v48
	v_add_f32_e32 v45, v45, v47
	v_fma_f32 v47, v35, s3, -v48
	v_mul_f32_e32 v48, 0x3e903f40, v43
	v_add_f32_e32 v47, v47, v49
	v_fma_f32 v49, v34, s12, -v48
	v_fmac_f32_e32 v94, 0xbe11bafb, v35
	v_add_f32_e32 v29, v49, v29
	v_mul_f32_e32 v49, 0x3e903f40, v38
	v_fmac_f32_e32 v48, 0xbf75a155, v34
	v_add_f32_e32 v87, v94, v87
	v_mov_b32_e32 v94, v49
	v_add_f32_e32 v28, v48, v28
	v_fma_f32 v48, v35, s12, -v49
	v_mul_f32_e32 v49, 0x3f68dda4, v43
	v_add_f32_e32 v48, v48, v50
	v_fma_f32 v50, v34, s2, -v49
	v_fmac_f32_e32 v94, 0xbf75a155, v35
	v_add_f32_e32 v50, v50, v89
	v_mul_f32_e32 v89, 0x3f68dda4, v38
	v_add_f32_e32 v90, v94, v90
	v_mov_b32_e32 v94, v89
	v_fmac_f32_e32 v49, 0x3ed4b147, v34
	v_fmac_f32_e32 v94, 0x3ed4b147, v35
	v_add_f32_e32 v49, v49, v88
	v_fma_f32 v88, v35, s2, -v89
	v_mul_f32_e32 v89, 0xbf0a6770, v43
	v_add_f32_e32 v93, v94, v93
	v_add_f32_e32 v88, v88, v91
	v_fma_f32 v91, v34, s4, -v89
	v_mul_f32_e32 v94, 0xbf0a6770, v38
	v_fmac_f32_e32 v89, 0x3f575c64, v34
	v_mul_f32_e32 v43, 0xbf4178ce, v43
	v_mul_f32_e32 v38, 0xbf4178ce, v38
	v_add_f32_e32 v91, v91, v95
	v_mov_b32_e32 v95, v94
	v_add_f32_e32 v89, v89, v92
	v_fma_f32 v92, v35, s4, -v94
	v_fma_f32 v94, v34, s5, -v43
	v_fmac_f32_e32 v43, 0xbf27a4f4, v34
	v_fma_f32 v34, v35, s5, -v38
	v_add_f32_e32 v92, v92, v97
	v_mov_b32_e32 v97, v38
	v_add_f32_e32 v33, v34, v33
	v_add_f32_e32 v34, v39, v42
	v_sub_f32_e32 v38, v39, v42
	v_sub_f32_e32 v39, v96, v102
	v_mul_f32_e32 v42, 0xbf4178ce, v39
	v_add_f32_e32 v32, v43, v32
	v_fma_f32 v43, v34, s5, -v42
	v_fmac_f32_e32 v95, 0x3f575c64, v35
	v_fmac_f32_e32 v97, 0xbf27a4f4, v35
	v_add_f32_e32 v35, v96, v102
	v_add_f32_e32 v43, v43, v46
	v_mul_f32_e32 v46, 0xbf4178ce, v38
	v_fmac_f32_e32 v42, 0xbf27a4f4, v34
	v_mov_b32_e32 v96, v46
	v_add_f32_e32 v42, v42, v45
	v_fma_f32 v45, v35, s5, -v46
	v_mul_f32_e32 v46, 0x3f7d64f0, v39
	v_add_f32_e32 v45, v45, v47
	v_fma_f32 v47, v34, s3, -v46
	v_add_f32_e32 v47, v47, v29
	v_mul_f32_e32 v29, 0x3f7d64f0, v38
	v_fmac_f32_e32 v46, 0xbe11bafb, v34
	v_add_f32_e32 v46, v46, v28
	v_fma_f32 v28, v35, s3, -v29
	v_fmac_f32_e32 v96, 0xbf27a4f4, v35
	v_add_f32_e32 v48, v28, v48
	v_mul_f32_e32 v28, 0xbf0a6770, v39
	v_add_f32_e32 v87, v96, v87
	v_mov_b32_e32 v96, v29
	v_fma_f32 v29, v34, s4, -v28
	v_add_f32_e32 v50, v29, v50
	v_mul_f32_e32 v29, 0xbf0a6770, v38
	v_fmac_f32_e32 v28, 0x3f575c64, v34
	v_add_f32_e32 v49, v28, v49
	v_fma_f32 v28, v35, s4, -v29
	v_fmac_f32_e32 v96, 0xbe11bafb, v35
	v_add_f32_e32 v88, v28, v88
	v_mul_f32_e32 v28, 0xbe903f40, v39
	v_add_f32_e32 v90, v96, v90
	v_mov_b32_e32 v96, v29
	v_fma_f32 v29, v34, s12, -v28
	v_add_f32_e32 v91, v29, v91
	v_mul_f32_e32 v29, 0xbe903f40, v38
	v_fmac_f32_e32 v28, 0xbf75a155, v34
	v_add_f32_e32 v89, v28, v89
	v_fma_f32 v28, v35, s12, -v29
	v_add_f32_e32 v99, v99, v107
	v_fmac_f32_e32 v96, 0x3f575c64, v35
	v_add_f32_e32 v92, v28, v92
	v_mul_f32_e32 v28, 0x3f68dda4, v39
	v_add_f32_e32 v94, v94, v99
	v_add_f32_e32 v93, v96, v93
	v_mov_b32_e32 v96, v29
	v_fma_f32 v29, v34, s2, -v28
	v_add_f32_e32 v94, v29, v94
	v_mul_f32_e32 v29, 0x3f68dda4, v38
	v_add_f32_e32 v101, v101, v105
	v_add_f32_e32 v103, v103, v108
	v_mov_b32_e32 v38, v29
	v_add_f32_e32 v95, v95, v101
	v_add_f32_e32 v97, v97, v103
	v_fmac_f32_e32 v96, 0xbf75a155, v35
	v_fmac_f32_e32 v38, 0x3ed4b147, v35
	v_fmac_f32_e32 v28, 0x3ed4b147, v34
	v_add_f32_e32 v95, v96, v95
	v_add_f32_e32 v96, v38, v97
	;; [unrolled: 1-line block ×3, first 2 shown]
	v_fma_f32 v28, v35, s2, -v29
	v_add_f32_e32 v102, v98, v100
	v_sub_f32_e32 v98, v98, v100
	v_add_f32_e32 v99, v28, v33
	v_add_f32_e32 v101, v40, v41
	v_mul_f32_e32 v28, 0xbe903f40, v98
	v_sub_f32_e32 v103, v40, v41
	v_fma_f32 v29, v101, s12, -v28
	v_add_f32_e32 v38, v29, v43
	v_mul_f32_e32 v29, 0xbe903f40, v103
	v_mov_b32_e32 v32, v29
	v_fmac_f32_e32 v32, 0xbf75a155, v102
	v_add_f32_e32 v39, v32, v87
	v_mul_f32_e32 v32, 0x3f0a6770, v98
	v_fma_f32 v33, v101, s4, -v32
	v_add_f32_e32 v40, v33, v47
	v_mul_f32_e32 v33, 0x3f0a6770, v103
	v_mov_b32_e32 v34, v33
	v_fmac_f32_e32 v34, 0x3f575c64, v102
	v_fmac_f32_e32 v32, 0x3f575c64, v101
	v_add_f32_e32 v41, v34, v90
	v_add_f32_e32 v34, v32, v46
	v_fma_f32 v32, v102, s4, -v33
	v_add_f32_e32 v35, v32, v48
	v_mul_f32_e32 v32, 0xbf4178ce, v98
	v_fmac_f32_e32 v28, 0xbf75a155, v101
	v_fma_f32 v33, v101, s5, -v32
	v_add_f32_e32 v28, v28, v42
	v_add_f32_e32 v42, v33, v50
	v_mul_f32_e32 v33, 0xbf4178ce, v103
	v_mov_b32_e32 v43, v33
	v_fma_f32 v33, v102, s5, -v33
	v_add_f32_e32 v33, v33, v88
	v_mul_f32_e32 v48, 0x3f68dda4, v103
	v_mul_f32_e32 v88, 0xbf7d64f0, v103
	v_fma_f32 v29, v102, s12, -v29
	v_fmac_f32_e32 v32, 0xbf27a4f4, v101
	v_mul_f32_e32 v47, 0x3f68dda4, v98
	v_mov_b32_e32 v46, v48
	v_mul_f32_e32 v87, 0xbf7d64f0, v98
	v_mov_b32_e32 v50, v88
	v_add_f32_e32 v29, v29, v45
	v_fmac_f32_e32 v43, 0xbf27a4f4, v102
	v_add_f32_e32 v32, v32, v49
	v_fma_f32 v45, v101, s2, -v47
	v_fmac_f32_e32 v46, 0x3ed4b147, v102
	v_fmac_f32_e32 v47, 0x3ed4b147, v101
	v_fma_f32 v48, v102, s2, -v48
	v_fma_f32 v49, v101, s3, -v87
	v_fmac_f32_e32 v50, 0xbe11bafb, v102
	v_fmac_f32_e32 v87, 0xbe11bafb, v101
	v_fma_f32 v88, v102, s3, -v88
	s_movk_i32 s2, 0x1000
	v_add_f32_e32 v43, v43, v93
	v_add_f32_e32 v45, v45, v91
	v_add_f32_e32 v46, v46, v95
	v_add_f32_e32 v47, v47, v89
	v_add_f32_e32 v48, v48, v92
	v_add_f32_e32 v49, v49, v94
	v_add_f32_e32 v50, v50, v96
	v_add_f32_e32 v87, v87, v97
	v_add_f32_e32 v88, v88, v99
	ds_write2_b64 v73, v[36:37], v[38:39] offset1:48
	ds_write2_b64 v73, v[40:41], v[42:43] offset0:96 offset1:144
	ds_write2_b64 v73, v[45:46], v[49:50] offset0:192 offset1:240
	;; [unrolled: 1-line block ×4, first 2 shown]
	ds_write_b64 v73, v[28:29] offset:3840
	v_add_co_u32_e64 v36, s[2:3], s2, v52
	v_addc_co_u32_e64 v37, s[2:3], 0, v51, s[2:3]
	s_waitcnt lgkmcnt(0)
	; wave barrier
	s_waitcnt lgkmcnt(0)
	global_load_dwordx2 v[42:43], v[36:37], off offset:128
	s_movk_i32 s2, 0x1080
	v_add_co_u32_e64 v36, s[2:3], s2, v52
	v_addc_co_u32_e64 v37, s[2:3], 0, v51, s[2:3]
	global_load_dwordx2 v[49:50], v[36:37], off offset:1056
	global_load_dwordx2 v[95:96], v[36:37], off offset:2112
	;; [unrolled: 1-line block ×7, first 2 shown]
	ds_read2_b64 v[38:41], v73 offset1:48
	s_waitcnt vmcnt(7) lgkmcnt(0)
	v_mul_f32_e32 v45, v39, v43
	v_mul_f32_e32 v46, v38, v43
	v_fma_f32 v45, v38, v42, -v45
	v_fmac_f32_e32 v46, v39, v42
	ds_write_b64 v73, v[45:46]
	ds_read2_b64 v[45:48], v73 offset0:132 offset1:180
	ds_read2_b64 v[87:90], v44 offset0:8 offset1:56
	;; [unrolled: 1-line block ×3, first 2 shown]
	s_waitcnt vmcnt(6) lgkmcnt(2)
	v_mul_f32_e32 v38, v46, v50
	v_mul_f32_e32 v39, v45, v50
	v_fma_f32 v38, v45, v49, -v38
	v_fmac_f32_e32 v39, v46, v49
	s_waitcnt vmcnt(2)
	v_mul_f32_e32 v49, v41, v102
	v_mul_f32_e32 v50, v40, v102
	v_fma_f32 v49, v40, v101, -v49
	v_fmac_f32_e32 v50, v41, v101
	s_waitcnt lgkmcnt(1)
	v_mul_f32_e32 v42, v88, v96
	v_mul_f32_e32 v43, v87, v96
	ds_write2_b64 v73, v[49:50], v[38:39] offset0:48 offset1:132
	v_mul_f32_e32 v38, v48, v100
	v_mul_f32_e32 v39, v47, v100
	v_fma_f32 v42, v87, v95, -v42
	v_fmac_f32_e32 v43, v88, v95
	v_fma_f32 v38, v47, v99, -v38
	v_fmac_f32_e32 v39, v48, v99
	v_add_u32_e32 v40, 0x400, v73
	s_waitcnt lgkmcnt(1)
	v_mul_f32_e32 v45, v92, v98
	v_mul_f32_e32 v46, v91, v98
	ds_write2_b64 v40, v[38:39], v[42:43] offset0:52 offset1:136
	s_waitcnt vmcnt(0)
	v_mul_f32_e32 v38, v90, v106
	v_mul_f32_e32 v39, v89, v106
	v_fma_f32 v45, v91, v97, -v45
	v_fmac_f32_e32 v46, v92, v97
	v_fma_f32 v38, v89, v105, -v38
	v_fmac_f32_e32 v39, v90, v105
	ds_write2_b64 v44, v[38:39], v[45:46] offset0:56 offset1:140
	v_mul_f32_e32 v38, v94, v104
	v_mul_f32_e32 v39, v93, v104
	v_fma_f32 v38, v93, v103, -v38
	v_fmac_f32_e32 v39, v94, v103
	ds_write_b64 v73, v[38:39] offset:3552
	s_and_saveexec_b64 s[2:3], s[0:1]
	s_cbranch_execz .LBB0_17
; %bb.16:
	global_load_dwordx2 v[40:41], v[36:37], off offset:768
	global_load_dwordx2 v[42:43], v[36:37], off offset:1824
	;; [unrolled: 1-line block ×4, first 2 shown]
	ds_read2_b64 v[36:39], v73 offset0:96 offset1:228
	s_waitcnt vmcnt(3) lgkmcnt(0)
	v_mul_f32_e32 v49, v37, v41
	v_mul_f32_e32 v50, v36, v41
	s_waitcnt vmcnt(2)
	v_mul_f32_e32 v51, v39, v43
	v_mul_f32_e32 v41, v38, v43
	v_fma_f32 v49, v36, v40, -v49
	v_fmac_f32_e32 v50, v37, v40
	v_fma_f32 v40, v38, v42, -v51
	v_fmac_f32_e32 v41, v39, v42
	ds_write2_b64 v73, v[49:50], v[40:41] offset0:96 offset1:228
	ds_read2_b64 v[36:39], v44 offset0:104 offset1:236
	s_waitcnt vmcnt(1) lgkmcnt(0)
	v_mul_f32_e32 v40, v37, v46
	v_mul_f32_e32 v41, v36, v46
	s_waitcnt vmcnt(0)
	v_mul_f32_e32 v42, v39, v48
	v_mul_f32_e32 v43, v38, v48
	v_fma_f32 v40, v36, v45, -v40
	v_fmac_f32_e32 v41, v37, v45
	v_fma_f32 v42, v38, v47, -v42
	v_fmac_f32_e32 v43, v39, v47
	ds_write2_b64 v44, v[40:41], v[42:43] offset0:104 offset1:236
.LBB0_17:
	s_or_b64 exec, exec, s[2:3]
	s_waitcnt lgkmcnt(0)
	; wave barrier
	s_waitcnt lgkmcnt(0)
	ds_read2_b64 v[40:43], v73 offset1:48
	ds_read2_b64 v[36:39], v73 offset0:132 offset1:180
	ds_read2_b64 v[48:51], v44 offset0:8 offset1:56
	;; [unrolled: 1-line block ×3, first 2 shown]
	s_and_saveexec_b64 s[2:3], s[0:1]
	s_cbranch_execz .LBB0_19
; %bb.18:
	v_add_u32_e32 v28, 0x800, v73
	ds_read2_b64 v[32:35], v73 offset0:96 offset1:228
	ds_read2_b64 v[28:31], v28 offset0:104 offset1:236
.LBB0_19:
	s_or_b64 exec, exec, s[2:3]
	s_waitcnt lgkmcnt(1)
	v_sub_f32_e32 v48, v40, v48
	v_sub_f32_e32 v49, v41, v49
	s_waitcnt lgkmcnt(0)
	v_sub_f32_e32 v44, v36, v44
	v_sub_f32_e32 v45, v37, v45
	v_fma_f32 v40, v40, 2.0, -v48
	v_fma_f32 v41, v41, 2.0, -v49
	v_fma_f32 v36, v36, 2.0, -v44
	v_fma_f32 v37, v37, 2.0, -v45
	v_sub_f32_e32 v87, v40, v36
	v_sub_f32_e32 v88, v41, v37
	v_add_f32_e32 v89, v48, v45
	v_sub_f32_e32 v90, v49, v44
	v_sub_f32_e32 v44, v42, v50
	;; [unrolled: 1-line block ×3, first 2 shown]
	v_fma_f32 v91, v40, 2.0, -v87
	v_fma_f32 v92, v41, 2.0, -v88
	;; [unrolled: 1-line block ×4, first 2 shown]
	v_sub_f32_e32 v42, v38, v46
	v_sub_f32_e32 v43, v39, v47
	v_fma_f32 v36, v38, 2.0, -v42
	v_fma_f32 v37, v39, 2.0, -v43
	v_add_f32_e32 v38, v44, v43
	v_sub_f32_e32 v39, v45, v42
	v_fma_f32 v42, v44, 2.0, -v38
	v_fma_f32 v43, v45, 2.0, -v39
	v_sub_f32_e32 v44, v32, v28
	v_sub_f32_e32 v45, v33, v29
	;; [unrolled: 1-line block ×4, first 2 shown]
	v_fma_f32 v28, v32, 2.0, -v44
	v_fma_f32 v29, v33, 2.0, -v45
	;; [unrolled: 1-line block ×4, first 2 shown]
	v_sub_f32_e32 v32, v28, v32
	v_sub_f32_e32 v33, v29, v33
	v_add_f32_e32 v34, v31, v44
	v_sub_f32_e32 v35, v45, v30
	v_fma_f32 v93, v48, 2.0, -v89
	v_fma_f32 v94, v49, 2.0, -v90
	v_sub_f32_e32 v36, v40, v36
	v_sub_f32_e32 v37, v41, v37
	v_fma_f32 v28, v28, 2.0, -v32
	v_fma_f32 v29, v29, 2.0, -v33
	;; [unrolled: 1-line block ×6, first 2 shown]
	s_waitcnt lgkmcnt(0)
	; wave barrier
	ds_write_b128 v77, v[91:94]
	ds_write_b128 v77, v[87:90] offset:16
	ds_write_b128 v78, v[40:43]
	ds_write_b128 v78, v[36:39] offset:16
	s_and_saveexec_b64 s[2:3], s[0:1]
	s_cbranch_execz .LBB0_21
; %bb.20:
	ds_write_b128 v76, v[28:31]
	ds_write_b128 v76, v[32:35] offset:16
.LBB0_21:
	s_or_b64 exec, exec, s[2:3]
	v_add_u32_e32 v76, 0x800, v73
	s_waitcnt lgkmcnt(0)
	; wave barrier
	s_waitcnt lgkmcnt(0)
	ds_read2_b64 v[36:39], v73 offset1:48
	ds_read2_b64 v[48:51], v73 offset0:132 offset1:180
	ds_read2_b64 v[44:47], v76 offset0:8 offset1:56
	;; [unrolled: 1-line block ×3, first 2 shown]
	s_and_saveexec_b64 s[2:3], s[0:1]
	s_cbranch_execz .LBB0_23
; %bb.22:
	ds_read2_b64 v[28:31], v73 offset0:96 offset1:228
	ds_read2_b64 v[32:35], v76 offset0:104 offset1:236
.LBB0_23:
	s_or_b64 exec, exec, s[2:3]
	s_waitcnt lgkmcnt(2)
	v_mul_f32_e32 v76, v1, v49
	v_fmac_f32_e32 v76, v0, v48
	v_mul_f32_e32 v48, v1, v48
	v_fma_f32 v48, v0, v49, -v48
	s_waitcnt lgkmcnt(1)
	v_mul_f32_e32 v49, v3, v45
	v_fmac_f32_e32 v49, v2, v44
	v_mul_f32_e32 v44, v3, v44
	v_fma_f32 v44, v2, v45, -v44
	;; [unrolled: 5-line block ×3, first 2 shown]
	v_mul_f32_e32 v41, v1, v51
	v_fmac_f32_e32 v41, v0, v50
	v_mul_f32_e32 v50, v1, v50
	v_fma_f32 v50, v0, v51, -v50
	v_mul_f32_e32 v51, v3, v47
	v_fmac_f32_e32 v51, v2, v46
	v_mul_f32_e32 v46, v3, v46
	v_mul_f32_e32 v77, v1, v31
	;; [unrolled: 1-line block ×3, first 2 shown]
	v_fma_f32 v46, v2, v47, -v46
	v_mul_f32_e32 v47, v72, v43
	v_fmac_f32_e32 v77, v0, v30
	v_fma_f32 v0, v0, v31, -v1
	v_mul_f32_e32 v1, v3, v33
	v_mul_f32_e32 v3, v3, v32
	v_fmac_f32_e32 v47, v71, v42
	v_mul_f32_e32 v42, v72, v42
	v_fmac_f32_e32 v1, v2, v32
	v_fma_f32 v2, v2, v33, -v3
	v_mul_f32_e32 v3, v72, v35
	v_fma_f32 v42, v71, v43, -v42
	v_fmac_f32_e32 v3, v71, v34
	v_mul_f32_e32 v30, v72, v34
	v_sub_f32_e32 v43, v36, v49
	v_sub_f32_e32 v34, v48, v40
	v_fma_f32 v71, v71, v35, -v30
	v_sub_f32_e32 v44, v37, v44
	v_sub_f32_e32 v35, v76, v45
	v_fma_f32 v31, v48, 2.0, -v34
	v_add_f32_e32 v34, v43, v34
	v_sub_f32_e32 v45, v39, v46
	v_sub_f32_e32 v42, v50, v42
	v_fma_f32 v32, v36, 2.0, -v43
	v_fma_f32 v30, v76, 2.0, -v35
	v_sub_f32_e32 v35, v44, v35
	v_fma_f32 v36, v43, 2.0, -v34
	v_fma_f32 v43, v39, 2.0, -v45
	;; [unrolled: 1-line block ×5, first 2 shown]
	v_sub_f32_e32 v44, v38, v51
	v_sub_f32_e32 v46, v41, v47
	;; [unrolled: 1-line block ×3, first 2 shown]
	v_fma_f32 v40, v38, 2.0, -v44
	v_fma_f32 v38, v41, 2.0, -v46
	;; [unrolled: 1-line block ×3, first 2 shown]
	v_add_f32_e32 v42, v44, v42
	v_sub_f32_e32 v43, v45, v46
	v_fma_f32 v46, v44, 2.0, -v42
	v_fma_f32 v47, v45, 2.0, -v43
	v_sub_f32_e32 v1, v28, v1
	v_sub_f32_e32 v48, v29, v2
	;; [unrolled: 1-line block ×6, first 2 shown]
	v_fma_f32 v28, v28, 2.0, -v1
	v_fma_f32 v29, v29, 2.0, -v48
	;; [unrolled: 1-line block ×4, first 2 shown]
	v_add_f32_e32 v44, v1, v44
	v_sub_f32_e32 v45, v48, v45
	v_fma_f32 v32, v32, 2.0, -v30
	v_fma_f32 v33, v33, 2.0, -v31
	v_sub_f32_e32 v38, v40, v38
	v_sub_f32_e32 v2, v28, v2
	;; [unrolled: 1-line block ×3, first 2 shown]
	v_fma_f32 v0, v1, 2.0, -v44
	v_fma_f32 v1, v48, 2.0, -v45
	;; [unrolled: 1-line block ×3, first 2 shown]
	s_waitcnt lgkmcnt(0)
	; wave barrier
	ds_write2_b64 v80, v[32:33], v[36:37] offset1:4
	ds_write2_b64 v80, v[30:31], v[34:35] offset0:8 offset1:12
	ds_write2_b64 v81, v[40:41], v[46:47] offset1:4
	ds_write2_b64 v81, v[38:39], v[42:43] offset0:8 offset1:12
	s_and_saveexec_b64 s[2:3], s[0:1]
	s_cbranch_execz .LBB0_25
; %bb.24:
	s_movk_i32 s4, 0x3f0
	v_and_or_b32 v30, v82, s4, v75
	v_fma_f32 v29, v29, 2.0, -v3
	v_fma_f32 v28, v28, 2.0, -v2
	v_lshlrev_b32_e32 v30, 3, v30
	ds_write2_b64 v30, v[28:29], v[0:1] offset1:4
	ds_write2_b64 v30, v[2:3], v[44:45] offset0:8 offset1:12
.LBB0_25:
	s_or_b64 exec, exec, s[2:3]
	v_add_u32_e32 v36, 0x800, v73
	v_add_u32_e32 v48, 0x400, v73
	s_waitcnt lgkmcnt(0)
	; wave barrier
	s_waitcnt lgkmcnt(0)
	ds_read2_b64 v[32:35], v73 offset1:48
	ds_read2_b64 v[28:31], v73 offset0:96 offset1:176
	ds_read2_b64 v[40:43], v36 offset0:96 offset1:144
	;; [unrolled: 1-line block ×3, first 2 shown]
	ds_read_b64 v[46:47], v73 offset:3584
	s_and_saveexec_b64 s[2:3], vcc
	s_cbranch_execz .LBB0_27
; %bb.26:
	ds_read2_b64 v[0:3], v48 offset0:16 offset1:192
	ds_read_b64 v[44:45], v73 offset:3968
.LBB0_27:
	s_or_b64 exec, exec, s[2:3]
	s_waitcnt lgkmcnt(3)
	v_mul_f32_e32 v48, v5, v31
	v_fmac_f32_e32 v48, v4, v30
	v_mul_f32_e32 v30, v5, v30
	v_fma_f32 v49, v4, v31, -v30
	s_waitcnt lgkmcnt(2)
	v_mul_f32_e32 v50, v7, v41
	v_mul_f32_e32 v30, v7, v40
	v_fmac_f32_e32 v50, v6, v40
	v_fma_f32 v40, v6, v41, -v30
	s_waitcnt lgkmcnt(1)
	v_mul_f32_e32 v30, v5, v36
	v_fma_f32 v51, v4, v37, -v30
	v_mul_f32_e32 v71, v7, v43
	v_mul_f32_e32 v30, v7, v42
	v_fmac_f32_e32 v71, v6, v42
	v_fma_f32 v42, v6, v43, -v30
	v_mul_f32_e32 v30, v5, v38
	v_fma_f32 v75, v4, v39, -v30
	s_waitcnt lgkmcnt(0)
	v_mul_f32_e32 v30, v7, v46
	v_add_f32_e32 v31, v48, v50
	v_mul_f32_e32 v41, v5, v37
	v_mul_f32_e32 v76, v7, v47
	v_fma_f32 v47, v6, v47, -v30
	v_add_f32_e32 v30, v32, v48
	v_fma_f32 v32, -0.5, v31, v32
	v_fmac_f32_e32 v41, v4, v36
	v_sub_f32_e32 v31, v49, v40
	v_mov_b32_e32 v36, v32
	v_add_f32_e32 v37, v49, v40
	v_mul_f32_e32 v72, v5, v39
	v_fmac_f32_e32 v36, 0xbf5db3d7, v31
	v_fmac_f32_e32 v32, 0x3f5db3d7, v31
	v_add_f32_e32 v31, v33, v49
	v_fma_f32 v33, -0.5, v37, v33
	v_fmac_f32_e32 v72, v4, v38
	v_sub_f32_e32 v38, v48, v50
	v_mov_b32_e32 v37, v33
	v_add_f32_e32 v39, v41, v71
	v_fmac_f32_e32 v37, 0x3f5db3d7, v38
	v_fmac_f32_e32 v33, 0xbf5db3d7, v38
	v_add_f32_e32 v38, v34, v41
	v_fma_f32 v34, -0.5, v39, v34
	v_add_f32_e32 v31, v31, v40
	v_sub_f32_e32 v39, v51, v42
	v_mov_b32_e32 v40, v34
	v_fmac_f32_e32 v40, 0xbf5db3d7, v39
	v_fmac_f32_e32 v34, 0x3f5db3d7, v39
	v_add_f32_e32 v39, v35, v51
	v_add_f32_e32 v39, v39, v42
	;; [unrolled: 1-line block ×3, first 2 shown]
	v_fmac_f32_e32 v76, v6, v46
	v_fmac_f32_e32 v35, -0.5, v42
	v_sub_f32_e32 v42, v41, v71
	v_mov_b32_e32 v41, v35
	v_add_f32_e32 v43, v72, v76
	v_fmac_f32_e32 v41, 0x3f5db3d7, v42
	v_fmac_f32_e32 v35, 0xbf5db3d7, v42
	v_add_f32_e32 v42, v28, v72
	v_fma_f32 v28, -0.5, v43, v28
	v_sub_f32_e32 v43, v75, v47
	v_mov_b32_e32 v46, v28
	v_fmac_f32_e32 v46, 0xbf5db3d7, v43
	v_fmac_f32_e32 v28, 0x3f5db3d7, v43
	v_add_f32_e32 v43, v29, v75
	v_add_f32_e32 v43, v43, v47
	;; [unrolled: 1-line block ×3, first 2 shown]
	v_fmac_f32_e32 v29, -0.5, v47
	v_add_f32_e32 v30, v30, v50
	v_sub_f32_e32 v48, v72, v76
	v_mov_b32_e32 v47, v29
	v_add_f32_e32 v38, v38, v71
	v_add_f32_e32 v42, v42, v76
	v_fmac_f32_e32 v47, 0x3f5db3d7, v48
	v_fmac_f32_e32 v29, 0xbf5db3d7, v48
	s_waitcnt lgkmcnt(0)
	; wave barrier
	ds_write2_b64 v84, v[30:31], v[36:37] offset1:16
	ds_write_b64 v84, v[32:33] offset:256
	ds_write2_b64 v85, v[38:39], v[40:41] offset1:16
	ds_write_b64 v85, v[34:35] offset:256
	;; [unrolled: 2-line block ×3, first 2 shown]
	s_and_saveexec_b64 s[2:3], vcc
	s_cbranch_execz .LBB0_29
; %bb.28:
	v_mul_f32_e32 v28, v5, v3
	v_fmac_f32_e32 v28, v4, v2
	v_mul_f32_e32 v2, v5, v2
	v_mul_f32_e32 v29, v7, v45
	v_fma_f32 v31, v4, v3, -v2
	v_mul_f32_e32 v2, v7, v44
	v_fmac_f32_e32 v29, v6, v44
	v_fma_f32 v6, v6, v45, -v2
	v_add_f32_e32 v2, v6, v31
	v_fma_f32 v3, -0.5, v2, v1
	v_add_f32_e32 v2, v29, v28
	v_add_f32_e32 v1, v31, v1
	v_fma_f32 v2, -0.5, v2, v0
	v_sub_f32_e32 v7, v31, v6
	v_add_f32_e32 v1, v6, v1
	v_mul_u32_u24_e32 v6, 48, v83
	v_sub_f32_e32 v30, v28, v29
	v_mov_b32_e32 v5, v3
	v_mov_b32_e32 v4, v2
	v_add_f32_e32 v0, v0, v28
	v_or_b32_e32 v6, v6, v79
	v_fmac_f32_e32 v5, 0x3f5db3d7, v30
	v_fmac_f32_e32 v4, 0xbf5db3d7, v7
	v_add_f32_e32 v0, v29, v0
	v_lshlrev_b32_e32 v6, 3, v6
	v_fmac_f32_e32 v3, 0xbf5db3d7, v30
	v_fmac_f32_e32 v2, 0x3f5db3d7, v7
	ds_write2_b64 v6, v[0:1], v[4:5] offset1:16
	ds_write_b64 v6, v[2:3] offset:256
.LBB0_29:
	s_or_b64 exec, exec, s[2:3]
	s_waitcnt lgkmcnt(0)
	; wave barrier
	s_waitcnt lgkmcnt(0)
	ds_read2_b64 v[3:6], v73 offset1:48
	ds_read2_b64 v[28:31], v73 offset0:96 offset1:144
	ds_read2_b64 v[32:35], v73 offset0:192 offset1:240
	v_add_u32_e32 v2, 0x800, v73
	ds_read2_b64 v[36:39], v2 offset0:32 offset1:80
	ds_read2_b64 v[40:43], v2 offset0:128 offset1:176
	ds_read_b64 v[44:45], v73 offset:3840
	s_waitcnt lgkmcnt(5)
	v_mul_f32_e32 v7, v21, v6
	v_fmac_f32_e32 v7, v20, v5
	v_mul_f32_e32 v5, v21, v5
	v_fma_f32 v20, v20, v6, -v5
	s_waitcnt lgkmcnt(4)
	v_mul_f32_e32 v21, v23, v29
	v_mul_f32_e32 v5, v23, v28
	v_fmac_f32_e32 v21, v22, v28
	v_fma_f32 v22, v22, v29, -v5
	v_mul_f32_e32 v23, v17, v31
	v_mul_f32_e32 v5, v17, v30
	v_fmac_f32_e32 v23, v16, v30
	v_fma_f32 v16, v16, v31, -v5
	s_waitcnt lgkmcnt(3)
	v_mul_f32_e32 v17, v19, v33
	v_mul_f32_e32 v5, v19, v32
	v_fmac_f32_e32 v17, v18, v32
	v_fma_f32 v18, v18, v33, -v5
	v_mul_f32_e32 v19, v13, v35
	v_mul_f32_e32 v5, v13, v34
	v_fmac_f32_e32 v19, v12, v34
	;; [unrolled: 9-line block ×4, first 2 shown]
	v_fma_f32 v24, v24, v43, -v5
	s_waitcnt lgkmcnt(0)
	v_mul_f32_e32 v25, v27, v45
	v_mul_f32_e32 v5, v27, v44
	v_fmac_f32_e32 v25, v26, v44
	v_fma_f32 v26, v26, v45, -v5
	v_add_f32_e32 v5, v3, v7
	v_add_f32_e32 v6, v4, v20
	;; [unrolled: 1-line block ×18, first 2 shown]
	v_sub_f32_e32 v20, v20, v26
	v_mad_u64_u32 v[0:1], s[2:3], s10, v64, 0
	v_add_f32_e32 v6, v6, v24
	v_add_f32_e32 v5, v5, v25
	;; [unrolled: 1-line block ×3, first 2 shown]
	v_sub_f32_e32 v7, v7, v25
	v_mul_f32_e32 v25, 0xbf0a6770, v20
	v_mul_f32_e32 v29, 0x3f575c64, v28
	;; [unrolled: 1-line block ×10, first 2 shown]
	v_add_f32_e32 v6, v6, v26
	s_mov_b32 s4, 0x3f575c64
	v_mov_b32_e32 v26, v25
	v_mov_b32_e32 v30, v29
	s_mov_b32 s2, 0x3ed4b147
	v_mov_b32_e32 v32, v31
	v_mov_b32_e32 v34, v33
	;; [unrolled: 3-line block ×3, first 2 shown]
	v_mov_b32_e32 v40, v39
	v_mov_b32_e32 v42, v41
	s_mov_b32 s10, 0xbf75a155
	v_mov_b32_e32 v43, v20
	v_mov_b32_e32 v44, v28
	v_fmac_f32_e32 v26, 0x3f575c64, v27
	v_fmac_f32_e32 v30, 0x3f0a6770, v7
	v_fma_f32 v25, v27, s4, -v25
	v_fmac_f32_e32 v29, 0xbf0a6770, v7
	v_fmac_f32_e32 v32, 0x3ed4b147, v27
	v_fmac_f32_e32 v34, 0x3f68dda4, v7
	v_fma_f32 v31, v27, s2, -v31
	v_fmac_f32_e32 v33, 0xbf68dda4, v7
	;; [unrolled: 4-line block ×5, first 2 shown]
	v_add_f32_e32 v7, v21, v11
	v_sub_f32_e32 v11, v21, v11
	v_sub_f32_e32 v21, v22, v24
	v_add_f32_e32 v26, v3, v26
	v_add_f32_e32 v25, v3, v25
	;; [unrolled: 1-line block ×11, first 2 shown]
	v_mul_f32_e32 v22, 0xbf68dda4, v21
	v_mov_b32_e32 v24, v22
	v_fmac_f32_e32 v24, 0x3ed4b147, v7
	v_add_f32_e32 v24, v24, v26
	v_mul_f32_e32 v26, 0x3ed4b147, v20
	v_add_f32_e32 v29, v4, v29
	v_mov_b32_e32 v27, v26
	v_fma_f32 v22, v7, s2, -v22
	v_fmac_f32_e32 v26, 0xbf68dda4, v11
	v_add_f32_e32 v22, v22, v25
	v_add_f32_e32 v25, v26, v29
	v_mul_f32_e32 v26, 0xbf4178ce, v21
	v_add_f32_e32 v30, v4, v30
	v_add_f32_e32 v34, v4, v34
	;; [unrolled: 1-line block ×9, first 2 shown]
	v_mov_b32_e32 v28, v26
	v_fma_f32 v26, v7, s5, -v26
	v_fmac_f32_e32 v27, 0x3f68dda4, v11
	v_fmac_f32_e32 v28, 0xbf27a4f4, v7
	v_mul_f32_e32 v29, 0xbf27a4f4, v20
	v_add_f32_e32 v26, v26, v31
	v_mul_f32_e32 v31, 0x3e903f40, v21
	v_add_f32_e32 v27, v27, v30
	v_add_f32_e32 v28, v28, v32
	v_mov_b32_e32 v30, v29
	v_fmac_f32_e32 v29, 0xbf4178ce, v11
	v_mov_b32_e32 v32, v31
	v_fma_f32 v31, v7, s10, -v31
	v_fmac_f32_e32 v30, 0x3f4178ce, v11
	v_add_f32_e32 v29, v29, v33
	v_fmac_f32_e32 v32, 0xbf75a155, v7
	v_mul_f32_e32 v33, 0xbf75a155, v20
	v_add_f32_e32 v31, v31, v35
	v_mul_f32_e32 v35, 0x3f7d64f0, v21
	v_add_f32_e32 v30, v30, v34
	v_add_f32_e32 v32, v32, v36
	v_mov_b32_e32 v34, v33
	v_fmac_f32_e32 v33, 0x3e903f40, v11
	v_mov_b32_e32 v36, v35
	v_fmac_f32_e32 v34, 0xbe903f40, v11
	v_add_f32_e32 v33, v33, v37
	v_fmac_f32_e32 v36, 0xbe11bafb, v7
	v_mul_f32_e32 v37, 0xbe11bafb, v20
	v_fma_f32 v35, v7, s3, -v35
	v_mul_f32_e32 v21, 0x3f0a6770, v21
	v_mul_f32_e32 v20, 0x3f575c64, v20
	v_add_f32_e32 v34, v34, v38
	v_add_f32_e32 v36, v36, v40
	v_mov_b32_e32 v38, v37
	v_add_f32_e32 v35, v35, v39
	v_mov_b32_e32 v39, v21
	v_mov_b32_e32 v40, v20
	v_fmac_f32_e32 v38, 0xbf7d64f0, v11
	v_fmac_f32_e32 v37, 0x3f7d64f0, v11
	;; [unrolled: 1-line block ×4, first 2 shown]
	v_fma_f32 v7, v7, s4, -v21
	v_fmac_f32_e32 v20, 0x3f0a6770, v11
	v_add_f32_e32 v11, v16, v10
	v_sub_f32_e32 v10, v16, v10
	v_add_f32_e32 v3, v7, v3
	v_add_f32_e32 v7, v23, v9
	v_mul_f32_e32 v16, 0xbf7d64f0, v10
	v_add_f32_e32 v4, v20, v4
	v_mov_b32_e32 v20, v16
	v_fma_f32 v16, v7, s3, -v16
	v_sub_f32_e32 v9, v23, v9
	v_fmac_f32_e32 v20, 0xbe11bafb, v7
	v_mul_f32_e32 v21, 0xbe11bafb, v11
	v_add_f32_e32 v16, v16, v22
	v_mul_f32_e32 v22, 0x3e903f40, v10
	v_add_f32_e32 v20, v20, v24
	v_mov_b32_e32 v23, v21
	v_fmac_f32_e32 v21, 0xbf7d64f0, v9
	v_mov_b32_e32 v24, v22
	v_fma_f32 v22, v7, s10, -v22
	v_fmac_f32_e32 v23, 0x3f7d64f0, v9
	v_add_f32_e32 v21, v21, v25
	v_fmac_f32_e32 v24, 0xbf75a155, v7
	v_mul_f32_e32 v25, 0xbf75a155, v11
	v_add_f32_e32 v22, v22, v26
	v_mul_f32_e32 v26, 0x3f68dda4, v10
	v_add_f32_e32 v23, v23, v27
	v_add_f32_e32 v24, v24, v28
	v_mov_b32_e32 v27, v25
	v_fmac_f32_e32 v25, 0x3e903f40, v9
	v_mov_b32_e32 v28, v26
	v_fma_f32 v26, v7, s2, -v26
	v_fmac_f32_e32 v27, 0xbe903f40, v9
	v_add_f32_e32 v25, v25, v29
	v_fmac_f32_e32 v28, 0x3ed4b147, v7
	v_mul_f32_e32 v29, 0x3ed4b147, v11
	v_add_f32_e32 v26, v26, v31
	v_mul_f32_e32 v31, 0xbf0a6770, v10
	v_add_f32_e32 v27, v27, v30
	v_add_f32_e32 v28, v28, v32
	v_mov_b32_e32 v30, v29
	v_fmac_f32_e32 v29, 0x3f68dda4, v9
	v_mov_b32_e32 v32, v31
	v_fmac_f32_e32 v30, 0xbf68dda4, v9
	v_add_f32_e32 v29, v29, v33
	v_fmac_f32_e32 v32, 0x3f575c64, v7
	v_mul_f32_e32 v33, 0x3f575c64, v11
	v_fma_f32 v31, v7, s4, -v31
	v_mul_f32_e32 v10, 0xbf4178ce, v10
	v_mul_f32_e32 v11, 0xbf27a4f4, v11
	v_add_f32_e32 v30, v30, v34
	v_add_f32_e32 v32, v32, v36
	v_mov_b32_e32 v34, v33
	v_add_f32_e32 v31, v31, v35
	v_mov_b32_e32 v35, v10
	v_mov_b32_e32 v36, v11
	v_fmac_f32_e32 v34, 0x3f0a6770, v9
	v_fmac_f32_e32 v33, 0xbf0a6770, v9
	;; [unrolled: 1-line block ×4, first 2 shown]
	v_fma_f32 v7, v7, s5, -v10
	v_fmac_f32_e32 v11, 0xbf4178ce, v9
	v_add_f32_e32 v9, v18, v8
	v_sub_f32_e32 v8, v18, v8
	v_add_f32_e32 v3, v7, v3
	v_add_f32_e32 v4, v11, v4
	v_add_f32_e32 v7, v17, v15
	v_sub_f32_e32 v10, v17, v15
	v_mul_f32_e32 v11, 0xbf4178ce, v8
	v_mul_f32_e32 v17, 0xbf27a4f4, v9
	v_mov_b32_e32 v15, v11
	v_mov_b32_e32 v18, v17
	v_fma_f32 v11, v7, s5, -v11
	v_fmac_f32_e32 v17, 0xbf4178ce, v10
	v_fmac_f32_e32 v15, 0xbf27a4f4, v7
	v_add_f32_e32 v11, v11, v16
	v_add_f32_e32 v16, v17, v21
	v_mul_f32_e32 v17, 0x3f7d64f0, v8
	v_add_f32_e32 v15, v15, v20
	v_mov_b32_e32 v20, v17
	v_fma_f32 v17, v7, s3, -v17
	v_fmac_f32_e32 v18, 0x3f4178ce, v10
	v_fmac_f32_e32 v20, 0xbe11bafb, v7
	v_mul_f32_e32 v21, 0xbe11bafb, v9
	v_add_f32_e32 v17, v17, v22
	v_mul_f32_e32 v22, 0xbf0a6770, v8
	v_add_f32_e32 v18, v18, v23
	v_add_f32_e32 v20, v20, v24
	v_mov_b32_e32 v23, v21
	v_fmac_f32_e32 v21, 0x3f7d64f0, v10
	v_mov_b32_e32 v24, v22
	v_fma_f32 v22, v7, s4, -v22
	v_fmac_f32_e32 v23, 0xbf7d64f0, v10
	v_add_f32_e32 v21, v21, v25
	v_fmac_f32_e32 v24, 0x3f575c64, v7
	v_mul_f32_e32 v25, 0x3f575c64, v9
	v_add_f32_e32 v22, v22, v26
	v_mul_f32_e32 v26, 0xbe903f40, v8
	v_add_f32_e32 v23, v23, v27
	v_add_f32_e32 v24, v24, v28
	v_mov_b32_e32 v27, v25
	v_fmac_f32_e32 v25, 0xbf0a6770, v10
	v_mov_b32_e32 v28, v26
	v_fma_f32 v26, v7, s10, -v26
	v_mul_f32_e32 v8, 0x3f68dda4, v8
	v_add_f32_e32 v38, v38, v42
	v_add_f32_e32 v37, v37, v41
	v_fmac_f32_e32 v27, 0x3f0a6770, v10
	v_add_f32_e32 v25, v25, v29
	v_mul_f32_e32 v29, 0xbf75a155, v9
	v_add_f32_e32 v26, v26, v31
	v_mov_b32_e32 v31, v8
	v_add_f32_e32 v39, v39, v43
	v_add_f32_e32 v34, v34, v38
	;; [unrolled: 1-line block ×4, first 2 shown]
	v_fmac_f32_e32 v28, 0xbf75a155, v7
	v_mov_b32_e32 v30, v29
	v_fmac_f32_e32 v29, 0xbe903f40, v10
	v_fmac_f32_e32 v31, 0x3ed4b147, v7
	v_mul_f32_e32 v9, 0x3ed4b147, v9
	v_fma_f32 v7, v7, s2, -v8
	v_sub_f32_e32 v38, v12, v14
	v_add_f32_e32 v40, v40, v44
	v_add_f32_e32 v35, v35, v39
	;; [unrolled: 1-line block ×4, first 2 shown]
	v_mov_b32_e32 v32, v9
	v_add_f32_e32 v33, v7, v3
	v_mul_f32_e32 v7, 0xbe903f40, v38
	v_add_f32_e32 v36, v36, v40
	v_add_f32_e32 v31, v31, v35
	v_fmac_f32_e32 v32, 0xbf68dda4, v10
	v_add_f32_e32 v35, v19, v13
	v_mov_b32_e32 v3, v7
	v_add_f32_e32 v32, v32, v36
	v_add_f32_e32 v36, v12, v14
	v_fmac_f32_e32 v3, 0xbf75a155, v35
	v_fma_f32 v7, v35, s10, -v7
	v_fmac_f32_e32 v30, 0x3e903f40, v10
	v_fmac_f32_e32 v9, 0x3f68dda4, v10
	v_add_f32_e32 v3, v3, v15
	v_add_f32_e32 v7, v7, v11
	v_mul_f32_e32 v11, 0x3f0a6770, v38
	v_mul_f32_e32 v12, 0x3f575c64, v36
	;; [unrolled: 1-line block ×3, first 2 shown]
	v_add_f32_e32 v30, v30, v34
	v_add_f32_e32 v34, v9, v4
	v_sub_f32_e32 v37, v19, v13
	v_mul_f32_e32 v8, 0xbf75a155, v36
	v_mov_b32_e32 v9, v11
	v_mov_b32_e32 v10, v12
	;; [unrolled: 1-line block ×4, first 2 shown]
	v_fmac_f32_e32 v8, 0xbe903f40, v37
	v_fmac_f32_e32 v9, 0x3f575c64, v35
	;; [unrolled: 1-line block ×5, first 2 shown]
	v_add_f32_e32 v8, v8, v16
	v_add_f32_e32 v9, v9, v20
	;; [unrolled: 1-line block ×3, first 2 shown]
	v_fma_f32 v11, v35, s4, -v11
	v_fmac_f32_e32 v12, 0x3f0a6770, v37
	v_add_f32_e32 v13, v13, v24
	v_mul_f32_e32 v16, 0xbf27a4f4, v36
	v_fma_f32 v15, v35, s5, -v15
	v_mul_f32_e32 v19, 0x3f68dda4, v38
	v_mul_f32_e32 v20, 0x3ed4b147, v36
	;; [unrolled: 1-line block ×4, first 2 shown]
	v_add_f32_e32 v4, v4, v18
	v_add_f32_e32 v11, v11, v17
	;; [unrolled: 1-line block ×3, first 2 shown]
	v_mov_b32_e32 v14, v16
	v_add_f32_e32 v15, v15, v22
	v_mov_b32_e32 v17, v19
	v_mov_b32_e32 v18, v20
	;; [unrolled: 1-line block ×4, first 2 shown]
	v_fmac_f32_e32 v14, 0x3f4178ce, v37
	v_fmac_f32_e32 v16, 0xbf4178ce, v37
	;; [unrolled: 1-line block ×4, first 2 shown]
	v_fma_f32 v19, v35, s2, -v19
	v_fmac_f32_e32 v20, 0x3f68dda4, v37
	v_fmac_f32_e32 v21, 0xbe11bafb, v35
	v_fmac_f32_e32 v22, 0x3f7d64f0, v37
	v_fma_f32 v23, v35, s3, -v23
	v_fmac_f32_e32 v24, 0xbf7d64f0, v37
	v_add_f32_e32 v14, v14, v27
	v_add_f32_e32 v16, v16, v25
	;; [unrolled: 1-line block ×10, first 2 shown]
	ds_write2_b64 v73, v[5:6], v[3:4] offset1:48
	ds_write2_b64 v73, v[9:10], v[13:14] offset0:96 offset1:144
	ds_write2_b64 v73, v[17:18], v[21:22] offset0:192 offset1:240
	;; [unrolled: 1-line block ×4, first 2 shown]
	ds_write_b64 v73, v[7:8] offset:3840
	s_waitcnt lgkmcnt(0)
	; wave barrier
	s_waitcnt lgkmcnt(0)
	ds_read2_b64 v[3:6], v73 offset1:48
	v_mad_u64_u32 v[7:8], s[2:3], s11, v64, v[1:2]
	s_mov_b32 s2, 0xf07c1f08
	s_mov_b32 s3, 0x3f5f07c1
	s_waitcnt lgkmcnt(0)
	v_mul_f32_e32 v1, v70, v4
	v_fmac_f32_e32 v1, v69, v3
	v_cvt_f64_f32_e32 v[8:9], v1
	v_mul_f32_e32 v1, v70, v3
	v_fma_f32 v1, v69, v4, -v1
	v_cvt_f64_f32_e32 v[3:4], v1
	v_mul_f64 v[8:9], v[8:9], s[2:3]
	v_mad_u64_u32 v[11:12], s[4:5], s8, v74, 0
	v_mul_f64 v[3:4], v[3:4], s[2:3]
	v_mov_b32_e32 v1, v7
	v_mov_b32_e32 v7, v12
	v_lshlrev_b64 v[0:1], 3, v[0:1]
	v_mov_b32_e32 v15, s7
	v_mad_u64_u32 v[12:13], s[4:5], s9, v74, v[7:8]
	v_cvt_f32_f64_e32 v13, v[8:9]
	ds_read2_b64 v[7:10], v73 offset0:132 offset1:180
	v_cvt_f32_f64_e32 v14, v[3:4]
	v_add_co_u32_e32 v16, vcc, s6, v0
	v_addc_co_u32_e32 v15, vcc, v15, v1, vcc
	s_waitcnt lgkmcnt(0)
	v_mul_f32_e32 v3, v68, v8
	v_fmac_f32_e32 v3, v67, v7
	v_mul_f32_e32 v7, v68, v7
	v_fma_f32 v7, v67, v8, -v7
	v_cvt_f64_f32_e32 v[3:4], v3
	v_cvt_f64_f32_e32 v[7:8], v7
	s_mul_i32 s4, s9, 0x84
	s_mul_hi_u32 s5, s8, 0x84
	v_mul_f64 v[0:1], v[3:4], s[2:3]
	v_mul_f64 v[3:4], v[7:8], s[2:3]
	v_lshlrev_b64 v[7:8], 3, v[11:12]
	s_add_i32 s5, s5, s4
	v_add_co_u32_e32 v7, vcc, v16, v7
	v_addc_co_u32_e32 v8, vcc, v15, v8, vcc
	global_store_dwordx2 v[7:8], v[13:14], off
	ds_read2_b64 v[11:14], v2 offset0:8 offset1:56
	v_cvt_f32_f64_e32 v0, v[0:1]
	v_cvt_f32_f64_e32 v1, v[3:4]
	ds_read2_b64 v[15:18], v2 offset0:140 offset1:188
	s_mul_i32 s4, s8, 0x84
	s_waitcnt lgkmcnt(1)
	v_mul_f32_e32 v3, v63, v12
	v_fmac_f32_e32 v3, v62, v11
	v_cvt_f64_f32_e32 v[3:4], v3
	v_mul_f32_e32 v11, v63, v11
	v_fma_f32 v11, v62, v12, -v11
	v_cvt_f64_f32_e32 v[11:12], v11
	v_mul_f64 v[3:4], v[3:4], s[2:3]
	s_lshl_b64 s[4:5], s[4:5], 3
	v_mov_b32_e32 v19, s5
	v_mul_f64 v[11:12], v[11:12], s[2:3]
	v_add_co_u32_e32 v7, vcc, s4, v7
	v_addc_co_u32_e32 v8, vcc, v8, v19, vcc
	global_store_dwordx2 v[7:8], v[0:1], off
	v_cvt_f32_f64_e32 v0, v[3:4]
	s_waitcnt lgkmcnt(0)
	v_mul_f32_e32 v3, v61, v16
	v_fmac_f32_e32 v3, v60, v15
	v_cvt_f64_f32_e32 v[3:4], v3
	v_cvt_f32_f64_e32 v1, v[11:12]
	v_mul_f32_e32 v11, v61, v15
	v_fma_f32 v11, v60, v16, -v11
	v_cvt_f64_f32_e32 v[11:12], v11
	v_mul_f64 v[3:4], v[3:4], s[2:3]
	v_mul_f32_e32 v15, v66, v6
	v_fmac_f32_e32 v15, v65, v5
	v_mul_f64 v[11:12], v[11:12], s[2:3]
	v_cvt_f64_f32_e32 v[15:16], v15
	v_add_co_u32_e32 v7, vcc, s4, v7
	v_addc_co_u32_e32 v8, vcc, v8, v19, vcc
	v_mul_f32_e32 v5, v66, v5
	global_store_dwordx2 v[7:8], v[0:1], off
	v_cvt_f32_f64_e32 v0, v[3:4]
	v_mul_f64 v[3:4], v[15:16], s[2:3]
	v_fma_f32 v5, v65, v6, -v5
	v_cvt_f64_f32_e32 v[5:6], v5
	v_cvt_f32_f64_e32 v1, v[11:12]
	v_add_co_u32_e32 v7, vcc, s4, v7
	v_mul_f64 v[5:6], v[5:6], s[2:3]
	v_addc_co_u32_e32 v8, vcc, v8, v19, vcc
	global_store_dwordx2 v[7:8], v[0:1], off
	v_cvt_f32_f64_e32 v0, v[3:4]
	v_mul_f32_e32 v3, v57, v10
	v_fmac_f32_e32 v3, v56, v9
	v_cvt_f64_f32_e32 v[3:4], v3
	v_cvt_f32_f64_e32 v1, v[5:6]
	v_mul_f32_e32 v5, v57, v9
	v_fma_f32 v5, v56, v10, -v5
	v_mul_f64 v[3:4], v[3:4], s[2:3]
	s_mul_hi_u32 s7, s8, 0xfffffea4
	v_cvt_f64_f32_e32 v[5:6], v5
	s_mul_i32 s6, s9, 0xfffffea4
	s_sub_i32 s7, s7, s8
	s_add_i32 s7, s7, s6
	s_mul_i32 s6, s8, 0xfffffea4
	s_lshl_b64 s[6:7], s[6:7], 3
	v_mul_f64 v[5:6], v[5:6], s[2:3]
	v_mov_b32_e32 v9, s7
	v_add_co_u32_e32 v7, vcc, s6, v7
	v_addc_co_u32_e32 v8, vcc, v8, v9, vcc
	global_store_dwordx2 v[7:8], v[0:1], off
	v_cvt_f32_f64_e32 v0, v[3:4]
	v_mul_f32_e32 v3, v59, v14
	v_fmac_f32_e32 v3, v58, v13
	v_cvt_f64_f32_e32 v[3:4], v3
	v_cvt_f32_f64_e32 v1, v[5:6]
	v_mul_f32_e32 v5, v59, v13
	v_fma_f32 v5, v58, v14, -v5
	v_mul_f64 v[3:4], v[3:4], s[2:3]
	v_cvt_f64_f32_e32 v[5:6], v5
	v_mul_f32_e32 v9, v55, v18
	v_mul_f32_e32 v11, v55, v17
	v_fmac_f32_e32 v9, v54, v17
	v_fma_f32 v11, v54, v18, -v11
	v_cvt_f64_f32_e32 v[9:10], v9
	v_cvt_f64_f32_e32 v[11:12], v11
	v_add_co_u32_e32 v7, vcc, s4, v7
	v_mul_f64 v[5:6], v[5:6], s[2:3]
	v_addc_co_u32_e32 v8, vcc, v8, v19, vcc
	global_store_dwordx2 v[7:8], v[0:1], off
	v_cvt_f32_f64_e32 v0, v[3:4]
	v_mul_f64 v[3:4], v[9:10], s[2:3]
	v_mul_f64 v[9:10], v[11:12], s[2:3]
	v_cvt_f32_f64_e32 v1, v[5:6]
	v_add_co_u32_e32 v5, vcc, s4, v7
	v_addc_co_u32_e32 v6, vcc, v8, v19, vcc
	v_cvt_f32_f64_e32 v3, v[3:4]
	v_cvt_f32_f64_e32 v4, v[9:10]
	global_store_dwordx2 v[5:6], v[0:1], off
	v_add_co_u32_e32 v0, vcc, s4, v5
	v_addc_co_u32_e32 v1, vcc, v6, v19, vcc
	global_store_dwordx2 v[0:1], v[3:4], off
	s_and_b64 exec, exec, s[0:1]
	s_cbranch_execz .LBB0_31
; %bb.30:
	global_load_dwordx2 v[11:12], v[52:53], off offset:768
	global_load_dwordx2 v[13:14], v[52:53], off offset:1824
	;; [unrolled: 1-line block ×4, first 2 shown]
	ds_read2_b64 v[3:6], v73 offset0:96 offset1:228
	ds_read2_b64 v[7:10], v2 offset0:104 offset1:236
	v_mov_b32_e32 v19, s7
	v_add_co_u32_e32 v0, vcc, s6, v0
	v_addc_co_u32_e32 v1, vcc, v1, v19, vcc
	v_mov_b32_e32 v24, s5
	v_add_co_u32_e32 v19, vcc, s4, v0
	v_addc_co_u32_e32 v20, vcc, v1, v24, vcc
	v_add_co_u32_e32 v21, vcc, s4, v19
	v_addc_co_u32_e32 v22, vcc, v20, v24, vcc
	;; [unrolled: 2-line block ×3, first 2 shown]
	s_waitcnt vmcnt(3) lgkmcnt(1)
	v_mul_f32_e32 v2, v4, v12
	v_mul_f32_e32 v12, v3, v12
	s_waitcnt vmcnt(2)
	v_mul_f32_e32 v25, v6, v14
	v_mul_f32_e32 v14, v5, v14
	v_fmac_f32_e32 v2, v3, v11
	v_fma_f32 v4, v11, v4, -v12
	s_waitcnt vmcnt(1) lgkmcnt(0)
	v_mul_f32_e32 v26, v8, v16
	v_mul_f32_e32 v16, v7, v16
	s_waitcnt vmcnt(0)
	v_mul_f32_e32 v27, v10, v18
	v_fmac_f32_e32 v25, v5, v13
	v_fma_f32 v11, v13, v6, -v14
	v_cvt_f64_f32_e32 v[2:3], v2
	v_cvt_f64_f32_e32 v[4:5], v4
	v_mul_f32_e32 v18, v9, v18
	v_fmac_f32_e32 v26, v7, v15
	v_fma_f32 v12, v15, v8, -v16
	v_fmac_f32_e32 v27, v9, v17
	v_cvt_f64_f32_e32 v[6:7], v25
	v_cvt_f64_f32_e32 v[8:9], v11
	v_fma_f32 v16, v17, v10, -v18
	v_cvt_f64_f32_e32 v[10:11], v26
	v_cvt_f64_f32_e32 v[12:13], v12
	;; [unrolled: 1-line block ×4, first 2 shown]
	v_mul_f64 v[2:3], v[2:3], s[2:3]
	v_mul_f64 v[4:5], v[4:5], s[2:3]
	;; [unrolled: 1-line block ×8, first 2 shown]
	v_cvt_f32_f64_e32 v2, v[2:3]
	v_cvt_f32_f64_e32 v3, v[4:5]
	;; [unrolled: 1-line block ×8, first 2 shown]
	global_store_dwordx2 v[0:1], v[2:3], off
	global_store_dwordx2 v[19:20], v[4:5], off
	;; [unrolled: 1-line block ×4, first 2 shown]
.LBB0_31:
	s_endpgm
	.section	.rodata,"a",@progbits
	.p2align	6, 0x0
	.amdhsa_kernel bluestein_single_back_len528_dim1_sp_op_CI_CI
		.amdhsa_group_segment_fixed_size 4224
		.amdhsa_private_segment_fixed_size 0
		.amdhsa_kernarg_size 104
		.amdhsa_user_sgpr_count 6
		.amdhsa_user_sgpr_private_segment_buffer 1
		.amdhsa_user_sgpr_dispatch_ptr 0
		.amdhsa_user_sgpr_queue_ptr 0
		.amdhsa_user_sgpr_kernarg_segment_ptr 1
		.amdhsa_user_sgpr_dispatch_id 0
		.amdhsa_user_sgpr_flat_scratch_init 0
		.amdhsa_user_sgpr_private_segment_size 0
		.amdhsa_uses_dynamic_stack 0
		.amdhsa_system_sgpr_private_segment_wavefront_offset 0
		.amdhsa_system_sgpr_workgroup_id_x 1
		.amdhsa_system_sgpr_workgroup_id_y 0
		.amdhsa_system_sgpr_workgroup_id_z 0
		.amdhsa_system_sgpr_workgroup_info 0
		.amdhsa_system_vgpr_workitem_id 0
		.amdhsa_next_free_vgpr 109
		.amdhsa_next_free_sgpr 20
		.amdhsa_reserve_vcc 1
		.amdhsa_reserve_flat_scratch 0
		.amdhsa_float_round_mode_32 0
		.amdhsa_float_round_mode_16_64 0
		.amdhsa_float_denorm_mode_32 3
		.amdhsa_float_denorm_mode_16_64 3
		.amdhsa_dx10_clamp 1
		.amdhsa_ieee_mode 1
		.amdhsa_fp16_overflow 0
		.amdhsa_exception_fp_ieee_invalid_op 0
		.amdhsa_exception_fp_denorm_src 0
		.amdhsa_exception_fp_ieee_div_zero 0
		.amdhsa_exception_fp_ieee_overflow 0
		.amdhsa_exception_fp_ieee_underflow 0
		.amdhsa_exception_fp_ieee_inexact 0
		.amdhsa_exception_int_div_zero 0
	.end_amdhsa_kernel
	.text
.Lfunc_end0:
	.size	bluestein_single_back_len528_dim1_sp_op_CI_CI, .Lfunc_end0-bluestein_single_back_len528_dim1_sp_op_CI_CI
                                        ; -- End function
	.section	.AMDGPU.csdata,"",@progbits
; Kernel info:
; codeLenInByte = 11000
; NumSgprs: 24
; NumVgprs: 109
; ScratchSize: 0
; MemoryBound: 0
; FloatMode: 240
; IeeeMode: 1
; LDSByteSize: 4224 bytes/workgroup (compile time only)
; SGPRBlocks: 2
; VGPRBlocks: 27
; NumSGPRsForWavesPerEU: 24
; NumVGPRsForWavesPerEU: 109
; Occupancy: 2
; WaveLimiterHint : 1
; COMPUTE_PGM_RSRC2:SCRATCH_EN: 0
; COMPUTE_PGM_RSRC2:USER_SGPR: 6
; COMPUTE_PGM_RSRC2:TRAP_HANDLER: 0
; COMPUTE_PGM_RSRC2:TGID_X_EN: 1
; COMPUTE_PGM_RSRC2:TGID_Y_EN: 0
; COMPUTE_PGM_RSRC2:TGID_Z_EN: 0
; COMPUTE_PGM_RSRC2:TIDIG_COMP_CNT: 0
	.type	__hip_cuid_955d03656f2af0fe,@object ; @__hip_cuid_955d03656f2af0fe
	.section	.bss,"aw",@nobits
	.globl	__hip_cuid_955d03656f2af0fe
__hip_cuid_955d03656f2af0fe:
	.byte	0                               ; 0x0
	.size	__hip_cuid_955d03656f2af0fe, 1

	.ident	"AMD clang version 19.0.0git (https://github.com/RadeonOpenCompute/llvm-project roc-6.4.0 25133 c7fe45cf4b819c5991fe208aaa96edf142730f1d)"
	.section	".note.GNU-stack","",@progbits
	.addrsig
	.addrsig_sym __hip_cuid_955d03656f2af0fe
	.amdgpu_metadata
---
amdhsa.kernels:
  - .args:
      - .actual_access:  read_only
        .address_space:  global
        .offset:         0
        .size:           8
        .value_kind:     global_buffer
      - .actual_access:  read_only
        .address_space:  global
        .offset:         8
        .size:           8
        .value_kind:     global_buffer
      - .actual_access:  read_only
        .address_space:  global
        .offset:         16
        .size:           8
        .value_kind:     global_buffer
      - .actual_access:  read_only
        .address_space:  global
        .offset:         24
        .size:           8
        .value_kind:     global_buffer
      - .actual_access:  read_only
        .address_space:  global
        .offset:         32
        .size:           8
        .value_kind:     global_buffer
      - .offset:         40
        .size:           8
        .value_kind:     by_value
      - .address_space:  global
        .offset:         48
        .size:           8
        .value_kind:     global_buffer
      - .address_space:  global
        .offset:         56
        .size:           8
        .value_kind:     global_buffer
      - .address_space:  global
        .offset:         64
        .size:           8
        .value_kind:     global_buffer
      - .address_space:  global
        .offset:         72
        .size:           8
        .value_kind:     global_buffer
      - .offset:         80
        .size:           4
        .value_kind:     by_value
      - .address_space:  global
        .offset:         88
        .size:           8
        .value_kind:     global_buffer
      - .address_space:  global
        .offset:         96
        .size:           8
        .value_kind:     global_buffer
    .group_segment_fixed_size: 4224
    .kernarg_segment_align: 8
    .kernarg_segment_size: 104
    .language:       OpenCL C
    .language_version:
      - 2
      - 0
    .max_flat_workgroup_size: 48
    .name:           bluestein_single_back_len528_dim1_sp_op_CI_CI
    .private_segment_fixed_size: 0
    .sgpr_count:     24
    .sgpr_spill_count: 0
    .symbol:         bluestein_single_back_len528_dim1_sp_op_CI_CI.kd
    .uniform_work_group_size: 1
    .uses_dynamic_stack: false
    .vgpr_count:     109
    .vgpr_spill_count: 0
    .wavefront_size: 64
amdhsa.target:   amdgcn-amd-amdhsa--gfx906
amdhsa.version:
  - 1
  - 2
...

	.end_amdgpu_metadata
